;; amdgpu-corpus repo=zjin-lcf/HeCBench kind=compiled arch=gfx906 opt=O3
	.amdgcn_target "amdgcn-amd-amdhsa--gfx906"
	.amdhsa_code_object_version 6
	.section	.text._ZL14largeNetKernelILi12ELi64EEvPKiS1_S1_PiS2_S2_P4edgeiS2_,"axG",@progbits,_ZL14largeNetKernelILi12ELi64EEvPKiS1_S1_PiS2_S2_P4edgeiS2_,comdat
	.globl	_ZL14largeNetKernelILi12ELi64EEvPKiS1_S1_PiS2_S2_P4edgeiS2_ ; -- Begin function _ZL14largeNetKernelILi12ELi64EEvPKiS1_S1_PiS2_S2_P4edgeiS2_
	.p2align	8
	.type	_ZL14largeNetKernelILi12ELi64EEvPKiS1_S1_PiS2_S2_P4edgeiS2_,@function
_ZL14largeNetKernelILi12ELi64EEvPKiS1_S1_PiS2_S2_P4edgeiS2_: ; @_ZL14largeNetKernelILi12ELi64EEvPKiS1_S1_PiS2_S2_P4edgeiS2_
; %bb.0:
	v_mbcnt_lo_u32_b32 v1, -1, 0
	v_mbcnt_hi_u32_b32 v1, -1, v1
	s_load_dwordx8 s[12:19], s[4:5], 0x0
	s_load_dwordx4 s[20:23], s[4:5], 0x20
	s_load_dwordx2 s[24:25], s[4:5], 0x30
	s_load_dwordx2 s[26:27], s[4:5], 0x40
	s_load_dword s10, s[4:5], 0x38
	v_lshlrev_b32_e32 v1, 2, v1
	v_and_b32_e32 v11, 0x100, v1
	v_lshlrev_b64 v[1:2], v0, -1
	v_lshrrev_b32_e32 v3, 6, v0
	v_not_b32_e32 v16, v1
	v_lshlrev_b32_e32 v1, 7, v3
	v_and_b32_e32 v10, 63, v0
	v_or_b32_e32 v17, 0x4800, v1
	v_add_u32_e32 v19, 0x4e00, v1
	s_mov_b32 s7, 0x5040100
	v_mov_b32_e32 v1, 0x5040100
	v_lshlrev_b32_e32 v4, 8, v3
	v_perm_b32 v23, 3, v10, v1
	v_perm_b32 v1, v10, v10, s7
	v_not_b32_e32 v15, v2
	v_mov_b32_e32 v2, 0x5400
	v_or_b32_e32 v24, 0x400000, v1
	v_lshl_or_b32 v1, v10, 2, v4
	v_cmp_eq_u32_e64 s[0:1], 0, v10
	v_cmp_gt_u32_e64 s[2:3], 3, v10
	v_or_b32_e32 v12, 4, v11
	v_or_b32_e32 v13, 8, v11
	;; [unrolled: 1-line block ×3, first 2 shown]
	v_lshl_or_b32 v18, v3, 2, v2
	v_add_u32_e32 v20, 0x3c00, v4
	v_lshlrev_b32_e32 v21, 10, v3
	v_or_b32_e32 v22, 64, v10
	s_mov_b32 s11, 0x400000
	v_add_u32_e32 v25, 0x3c00, v1
	s_mov_b64 s[28:29], 0
	v_mov_b32_e32 v26, 0
	s_mov_b32 s33, 0x2ffff
	s_mov_b32 s50, 0x30000
	;; [unrolled: 1-line block ×3, first 2 shown]
	v_bfrev_b32_e32 v27, -2
	s_movk_i32 s52, 0x2c0
	s_movk_i32 s53, 0x2bf
	s_movk_i32 s54, 0x400
	s_movk_i32 s55, 0x80
	v_mov_b32_e32 v28, 1
	v_mov_b32_e32 v29, 0x400000
                                        ; implicit-def: $vgpr1
	s_branch .LBB0_4
.LBB0_1:                                ;   in Loop: Header=BB0_4 Depth=1
	s_or_b64 exec, exec, s[8:9]
.LBB0_2:                                ;   in Loop: Header=BB0_4 Depth=1
	s_or_b64 exec, exec, s[4:5]
	s_xor_b64 s[4:5], exec, -1
.LBB0_3:                                ;   in Loop: Header=BB0_4 Depth=1
	s_or_b64 exec, exec, s[30:31]
	s_and_b64 s[4:5], exec, s[4:5]
	s_or_b64 s[28:29], s[4:5], s[28:29]
	s_andn2_b64 exec, exec, s[28:29]
	s_cbranch_execz .LBB0_107
.LBB0_4:                                ; =>This Loop Header: Depth=1
                                        ;     Child Loop BB0_13 Depth 2
                                        ;     Child Loop BB0_15 Depth 2
	;; [unrolled: 1-line block ×3, first 2 shown]
                                        ;       Child Loop BB0_39 Depth 3
                                        ;       Child Loop BB0_43 Depth 3
	;; [unrolled: 1-line block ×4, first 2 shown]
                                        ;         Child Loop BB0_57 Depth 4
                                        ;       Child Loop BB0_63 Depth 3
                                        ;       Child Loop BB0_68 Depth 3
	;; [unrolled: 1-line block ×3, first 2 shown]
                                        ;         Child Loop BB0_78 Depth 4
                                        ;           Child Loop BB0_83 Depth 5
                                        ;       Child Loop BB0_90 Depth 3
	s_and_saveexec_b64 s[4:5], s[0:1]
	s_cbranch_execz .LBB0_8
; %bb.5:                                ;   in Loop: Header=BB0_4 Depth=1
	s_mov_b64 s[30:31], exec
	v_mbcnt_lo_u32_b32 v1, s30, 0
	v_mbcnt_hi_u32_b32 v1, s31, v1
	v_cmp_eq_u32_e32 vcc, 0, v1
                                        ; implicit-def: $vgpr2
	s_and_saveexec_b64 s[8:9], vcc
	s_cbranch_execz .LBB0_7
; %bb.6:                                ;   in Loop: Header=BB0_4 Depth=1
	s_bcnt1_i32_b64 s34, s[30:31]
	s_getpc_b64 s[30:31]
	s_add_u32 s30, s30, _ZL8currpos1@rel32@lo+4
	s_addc_u32 s31, s31, _ZL8currpos1@rel32@hi+12
	v_mov_b32_e32 v2, s34
	global_atomic_add v2, v26, v2, s[30:31] glc
.LBB0_7:                                ;   in Loop: Header=BB0_4 Depth=1
	s_or_b64 exec, exec, s[8:9]
	s_waitcnt vmcnt(0)
	v_readfirstlane_b32 s8, v2
	v_add_u32_e32 v1, s8, v1
.LBB0_8:                                ;   in Loop: Header=BB0_4 Depth=1
	s_or_b64 exec, exec, s[4:5]
	ds_bpermute_b32 v1, v11, v1
	s_mov_b64 s[4:5], -1
	s_waitcnt lgkmcnt(0)
	v_cmp_gt_i32_e32 vcc, s10, v1
	s_and_saveexec_b64 s[30:31], vcc
	s_cbranch_execz .LBB0_3
; %bb.9:                                ;   in Loop: Header=BB0_4 Depth=1
	v_ashrrev_i32_e32 v2, 31, v1
	v_lshlrev_b64 v[5:6], 2, v[1:2]
	v_mov_b32_e32 v3, s13
	v_add_co_u32_e32 v2, vcc, s12, v5
	v_addc_co_u32_e32 v3, vcc, v3, v6, vcc
	global_load_dwordx2 v[3:4], v[2:3], off
	s_waitcnt vmcnt(0)
	v_lshlrev_b32_e32 v2, 1, v3
	s_and_saveexec_b64 s[4:5], s[0:1]
	s_cbranch_execz .LBB0_11
; %bb.10:                               ;   in Loop: Header=BB0_4 Depth=1
	v_mov_b32_e32 v7, s19
	v_add_co_u32_e32 v5, vcc, s18, v5
	v_addc_co_u32_e32 v6, vcc, v7, v6, vcc
	global_store_dword v[5:6], v2, off
.LBB0_11:                               ;   in Loop: Header=BB0_4 Depth=1
	s_or_b64 exec, exec, s[4:5]
	v_sub_u32_e32 v30, v4, v3
	v_cmp_lt_i32_sdwa s[8:9], v10, sext(v30) src0_sel:DWORD src1_sel:WORD_0
	s_and_saveexec_b64 s[4:5], s[8:9]
	s_cbranch_execz .LBB0_16
; %bb.12:                               ;   in Loop: Header=BB0_4 Depth=1
	s_mov_b64 s[8:9], 0
	v_mov_b32_e32 v4, v10
.LBB0_13:                               ;   Parent Loop BB0_4 Depth=1
                                        ; =>  This Inner Loop Header: Depth=2
	v_add_u32_e32 v5, v4, v3
	v_ashrrev_i32_e32 v6, 31, v5
	v_lshlrev_b64 v[6:7], 2, v[5:6]
	v_mov_b32_e32 v8, s15
	v_add_co_u32_e32 v6, vcc, s14, v6
	v_addc_co_u32_e32 v7, vcc, v8, v7, vcc
	global_load_dword v7, v[6:7], off
	v_add_u32_e32 v5, v5, v3
	v_ashrrev_i32_e32 v6, 31, v5
	v_lshl_add_u32 v4, v4, 16, v29
	v_lshlrev_b64 v[5:6], 2, v[5:6]
	v_ashrrev_i32_e32 v4, 16, v4
	v_mov_b32_e32 v8, s21
	v_cmp_ge_i32_sdwa s[34:35], v4, sext(v30) src0_sel:DWORD src1_sel:WORD_0
	v_add_co_u32_e32 v5, vcc, s20, v5
	s_or_b64 s[8:9], s[34:35], s[8:9]
	v_addc_co_u32_e32 v6, vcc, v8, v6, vcc
	s_waitcnt vmcnt(0)
	global_store_dword v[5:6], v7, off
	s_andn2_b64 exec, exec, s[8:9]
	s_cbranch_execnz .LBB0_13
; %bb.14:                               ;   in Loop: Header=BB0_4 Depth=1
	s_or_b64 exec, exec, s[8:9]
	s_mov_b64 s[8:9], 0
	v_mov_b32_e32 v4, v10
.LBB0_15:                               ;   Parent Loop BB0_4 Depth=1
                                        ; =>  This Inner Loop Header: Depth=2
	v_add_u32_e32 v5, v4, v3
	v_ashrrev_i32_e32 v6, 31, v5
	v_lshlrev_b64 v[6:7], 2, v[5:6]
	v_mov_b32_e32 v8, s17
	v_add_co_u32_e32 v6, vcc, s16, v6
	v_addc_co_u32_e32 v7, vcc, v8, v7, vcc
	global_load_dword v7, v[6:7], off
	v_add_u32_e32 v5, v5, v3
	v_ashrrev_i32_e32 v6, 31, v5
	v_lshl_add_u32 v4, v4, 16, v29
	v_lshlrev_b64 v[5:6], 2, v[5:6]
	v_ashrrev_i32_e32 v4, 16, v4
	v_mov_b32_e32 v8, s23
	v_cmp_ge_i32_sdwa s[34:35], v4, sext(v30) src0_sel:DWORD src1_sel:WORD_0
	v_add_co_u32_e32 v5, vcc, s22, v5
	s_or_b64 s[8:9], s[34:35], s[8:9]
	v_addc_co_u32_e32 v6, vcc, v8, v6, vcc
	s_waitcnt vmcnt(0)
	global_store_dword v[5:6], v7, off
	s_andn2_b64 exec, exec, s[8:9]
	s_cbranch_execnz .LBB0_15
.LBB0_16:                               ;   in Loop: Header=BB0_4 Depth=1
	s_or_b64 exec, exec, s[4:5]
	v_lshlrev_b32_e32 v3, 16, v30
	v_cmp_lt_i32_e32 vcc, s33, v3
	s_mov_b64 s[34:35], 0
	s_mov_b64 s[8:9], 0
	s_and_saveexec_b64 s[4:5], vcc
	s_xor_b64 s[4:5], exec, s[4:5]
	s_cbranch_execnz .LBB0_20
; %bb.17:                               ;   in Loop: Header=BB0_4 Depth=1
	s_andn2_saveexec_b64 s[4:5], s[4:5]
	s_cbranch_execnz .LBB0_27
.LBB0_18:                               ;   in Loop: Header=BB0_4 Depth=1
	s_or_b64 exec, exec, s[4:5]
	s_and_saveexec_b64 s[4:5], s[8:9]
	s_xor_b64 s[36:37], exec, s[4:5]
	s_cbranch_execnz .LBB0_28
.LBB0_19:                               ;   in Loop: Header=BB0_4 Depth=1
	s_or_b64 exec, exec, s[36:37]
	s_and_saveexec_b64 s[4:5], s[34:35]
	s_xor_b64 s[4:5], exec, s[4:5]
	s_cbranch_execz .LBB0_2
	s_branch .LBB0_105
.LBB0_20:                               ;   in Loop: Header=BB0_4 Depth=1
	v_cmp_eq_u32_e32 vcc, s50, v3
	s_mov_b64 s[36:37], -1
	s_and_saveexec_b64 s[8:9], vcc
	s_cbranch_execz .LBB0_26
; %bb.21:                               ;   in Loop: Header=BB0_4 Depth=1
                                        ; implicit-def: $vgpr4
                                        ; implicit-def: $vgpr3
	s_and_saveexec_b64 s[36:37], s[2:3]
	s_cbranch_execz .LBB0_23
; %bb.22:                               ;   in Loop: Header=BB0_4 Depth=1
	v_add_u32_e32 v3, v2, v10
	v_ashrrev_i32_e32 v4, 31, v3
	v_lshlrev_b64 v[5:6], 2, v[3:4]
	v_mov_b32_e32 v3, s21
	v_add_co_u32_e32 v7, vcc, s20, v5
	v_addc_co_u32_e32 v8, vcc, v3, v6, vcc
	v_mov_b32_e32 v3, s23
	v_add_co_u32_e32 v31, vcc, s22, v5
	v_addc_co_u32_e32 v32, vcc, v3, v6, vcc
	global_load_dword v3, v[7:8], off
	global_load_dword v4, v[31:32], off
	v_mov_b32_e32 v7, s25
	v_add_co_u32_e32 v5, vcc, s24, v5
	v_addc_co_u32_e32 v6, vcc, v7, v6, vcc
	global_store_dword v[5:6], v23, off
.LBB0_23:                               ;   in Loop: Header=BB0_4 Depth=1
	s_or_b64 exec, exec, s[36:37]
	s_waitcnt vmcnt(2)
	ds_bpermute_b32 v7, v12, v3
	s_waitcnt vmcnt(1)
	ds_bpermute_b32 v5, v12, v4
	ds_bpermute_b32 v8, v13, v3
	;; [unrolled: 1-line block ×3, first 2 shown]
	s_and_saveexec_b64 s[36:37], s[0:1]
	s_xor_b64 s[36:37], exec, s[36:37]
	s_cbranch_execz .LBB0_25
; %bb.24:                               ;   in Loop: Header=BB0_4 Depth=1
	s_waitcnt lgkmcnt(1)
	v_med3_i32 v9, v3, v7, v8
	v_ashrrev_i32_e32 v3, 31, v2
	v_lshlrev_b64 v[7:8], 2, v[2:3]
	v_mov_b32_e32 v3, s21
	v_add_co_u32_e32 v31, vcc, s20, v7
	v_addc_co_u32_e32 v32, vcc, v3, v8, vcc
	s_waitcnt lgkmcnt(0)
	v_med3_i32 v5, v4, v5, v6
	v_mov_b32_e32 v4, s23
	v_add_co_u32_e32 v3, vcc, s22, v7
	v_addc_co_u32_e32 v4, vcc, v4, v8, vcc
	global_store_dword v[31:32], v9, off offset:12
	global_store_dword v[3:4], v5, off offset:12
.LBB0_25:                               ;   in Loop: Header=BB0_4 Depth=1
	s_or_b64 exec, exec, s[36:37]
	s_xor_b64 s[36:37], exec, -1
.LBB0_26:                               ;   in Loop: Header=BB0_4 Depth=1
	s_or_b64 exec, exec, s[8:9]
	s_and_b64 s[8:9], s[36:37], exec
                                        ; implicit-def: $vgpr3
	s_andn2_saveexec_b64 s[4:5], s[4:5]
	s_cbranch_execz .LBB0_18
.LBB0_27:                               ;   in Loop: Header=BB0_4 Depth=1
	v_cmp_ne_u32_e32 vcc, s51, v3
	s_andn2_b64 s[8:9], s[8:9], exec
	s_and_b64 s[36:37], vcc, exec
	s_mov_b64 s[34:35], exec
	s_or_b64 s[8:9], s[8:9], s[36:37]
	s_or_b64 exec, exec, s[4:5]
	s_and_saveexec_b64 s[4:5], s[8:9]
	s_xor_b64 s[36:37], exec, s[4:5]
	s_cbranch_execz .LBB0_19
.LBB0_28:                               ;   in Loop: Header=BB0_4 Depth=1
	v_mov_b32_e32 v3, 32
	v_cmp_gt_i32_sdwa s[4:5], sext(v30), v3 src0_sel:WORD_0 src1_sel:DWORD
	s_and_saveexec_b64 s[8:9], s[4:5]
	s_xor_b64 s[4:5], exec, s[8:9]
	s_cbranch_execz .LBB0_34
; %bb.29:                               ;   in Loop: Header=BB0_4 Depth=1
	s_and_saveexec_b64 s[8:9], s[0:1]
	s_cbranch_execz .LBB0_33
; %bb.30:                               ;   in Loop: Header=BB0_4 Depth=1
	s_mov_b64 s[40:41], exec
	v_mbcnt_lo_u32_b32 v3, s40, 0
	v_mbcnt_hi_u32_b32 v3, s41, v3
	v_cmp_eq_u32_e32 vcc, 0, v3
                                        ; implicit-def: $vgpr4
	s_and_saveexec_b64 s[38:39], vcc
	s_cbranch_execz .LBB0_32
; %bb.31:                               ;   in Loop: Header=BB0_4 Depth=1
	s_bcnt1_i32_b64 s42, s[40:41]
	s_getpc_b64 s[40:41]
	s_add_u32 s40, s40, _ZL6wlsize@rel32@lo+4
	s_addc_u32 s41, s41, _ZL6wlsize@rel32@hi+12
	v_mov_b32_e32 v4, s42
	global_atomic_add v4, v26, v4, s[40:41] glc
.LBB0_32:                               ;   in Loop: Header=BB0_4 Depth=1
	s_or_b64 exec, exec, s[38:39]
	s_waitcnt vmcnt(0)
	v_readfirstlane_b32 s38, v4
	v_add_u32_e32 v3, s38, v3
	v_ashrrev_i32_e32 v4, 31, v3
	v_lshlrev_b64 v[3:4], 2, v[3:4]
	s_waitcnt lgkmcnt(2)
	v_mov_b32_e32 v5, s27
	v_add_co_u32_e32 v3, vcc, s26, v3
	v_addc_co_u32_e32 v4, vcc, v5, v4, vcc
	global_store_dword v[3:4], v1, off
.LBB0_33:                               ;   in Loop: Header=BB0_4 Depth=1
	s_or_b64 exec, exec, s[8:9]
                                        ; implicit-def: $vgpr30
.LBB0_34:                               ;   in Loop: Header=BB0_4 Depth=1
	s_andn2_saveexec_b64 s[38:39], s[4:5]
	s_cbranch_execz .LBB0_104
; %bb.35:                               ;   in Loop: Header=BB0_4 Depth=1
	v_ashrrev_i32_e32 v3, 31, v2
	v_lshlrev_b64 v[3:4], 2, v[2:3]
	s_waitcnt lgkmcnt(2)
	v_mov_b32_e32 v5, s21
	v_add_co_u32_e32 v31, vcc, s20, v3
	v_addc_co_u32_e32 v32, vcc, v5, v4, vcc
	v_mov_b32_e32 v5, s23
	v_add_co_u32_e32 v33, vcc, s22, v3
	v_addc_co_u32_e32 v34, vcc, v5, v4, vcc
	;; [unrolled: 3-line block ×3, first 2 shown]
	s_branch .LBB0_37
.LBB0_36:                               ;   in Loop: Header=BB0_37 Depth=2
	v_cndmask_b32_e64 v3, 0, 1, s[8:9]
	v_cmp_ne_u32_e32 vcc, 0, v3
	s_cbranch_vccz .LBB0_104
.LBB0_37:                               ;   Parent Loop BB0_4 Depth=1
                                        ; =>  This Loop Header: Depth=2
                                        ;       Child Loop BB0_39 Depth 3
                                        ;       Child Loop BB0_43 Depth 3
	;; [unrolled: 1-line block ×4, first 2 shown]
                                        ;         Child Loop BB0_57 Depth 4
                                        ;       Child Loop BB0_63 Depth 3
                                        ;       Child Loop BB0_68 Depth 3
                                        ;       Child Loop BB0_75 Depth 3
                                        ;         Child Loop BB0_78 Depth 4
                                        ;           Child Loop BB0_83 Depth 5
                                        ;       Child Loop BB0_90 Depth 3
	v_bfe_i32 v37, v30, 0, 16
	v_add_u32_e32 v38, -1, v37
	v_cmp_gt_i32_sdwa s[4:5], sext(v38), v10 src0_sel:WORD_0 src1_sel:DWORD
	s_and_saveexec_b64 s[40:41], s[4:5]
	s_cbranch_execz .LBB0_49
; %bb.38:                               ;   in Loop: Header=BB0_37 Depth=2
	s_mov_b64 s[4:5], 0
	v_mov_b32_e32 v3, v10
.LBB0_39:                               ;   Parent Loop BB0_4 Depth=1
                                        ;     Parent Loop BB0_37 Depth=2
                                        ; =>    This Inner Loop Header: Depth=3
	v_bfe_i32 v4, v3, 0, 16
	v_add_u16_e32 v3, 64, v3
	v_cmp_le_i32_sdwa s[8:9], sext(v38), sext(v3) src0_sel:WORD_0 src1_sel:WORD_0
	v_lshl_add_u32 v4, v4, 2, v14
	s_or_b64 s[4:5], s[8:9], s[4:5]
	ds_write_b32 v4, v27
	s_andn2_b64 exec, exec, s[4:5]
	s_cbranch_execnz .LBB0_39
; %bb.40:                               ;   in Loop: Header=BB0_37 Depth=2
	s_or_b64 exec, exec, s[4:5]
	v_not_b32_e32 v3, v10
	v_add_u32_sdwa v5, sext(v38), v3 dst_sel:DWORD dst_unused:UNUSED_PAD src0_sel:WORD_0 src1_sel:DWORD
	v_cmp_gt_u32_e64 s[42:43], s52, v5
	v_cmp_lt_u32_e32 vcc, s53, v5
	v_mov_b32_e32 v3, v10
	s_and_saveexec_b64 s[44:45], vcc
	s_cbranch_execz .LBB0_46
; %bb.41:                               ;   in Loop: Header=BB0_37 Depth=2
	v_lshrrev_b32_e32 v4, 6, v5
	v_lshlrev_b16_e32 v3, 6, v4
	v_cmp_gt_u16_e32 vcc, s54, v4
	v_add_u16_e32 v3, v22, v3
	v_cmp_gt_u32_e64 s[8:9], s11, v5
	v_cmp_ge_i16_e64 s[4:5], v3, v22
	s_and_b64 s[8:9], vcc, s[8:9]
	s_and_b64 s[46:47], s[8:9], s[4:5]
	s_mov_b64 s[8:9], -1
	v_mov_b32_e32 v3, v10
	s_and_saveexec_b64 s[4:5], s[46:47]
	s_cbranch_execz .LBB0_45
; %bb.42:                               ;   in Loop: Header=BB0_37 Depth=2
	v_add_u32_e32 v4, 1, v4
	v_and_b32_e32 v5, 0x7fffffe, v4
	s_mov_b64 s[8:9], 0
	v_mov_b32_e32 v3, v5
	s_waitcnt lgkmcnt(1)
	v_mov_b32_e32 v6, v24
.LBB0_43:                               ;   Parent Loop BB0_4 Depth=1
                                        ;     Parent Loop BB0_37 Depth=2
                                        ; =>    This Inner Loop Header: Depth=3
	v_add_u32_e32 v3, -2, v3
	v_ashrrev_i32_e32 v8, 16, v6
	v_bfe_i32 v9, v6, 0, 16
	v_cmp_eq_u32_e32 vcc, 0, v3
	v_pk_add_u16 v7, v6, 1 op_sel_hi:[1,0]
	v_pk_add_u16 v6, v6, s55 op_sel_hi:[1,0]
	v_lshl_add_u32 v9, v9, 1, v17
	v_lshl_add_u32 v8, v8, 1, v17
	s_or_b64 s[8:9], vcc, s[8:9]
	ds_write_b16 v9, v7
	ds_write_b16_d16_hi v8, v7
	s_andn2_b64 exec, exec, s[8:9]
	s_cbranch_execnz .LBB0_43
; %bb.44:                               ;   in Loop: Header=BB0_37 Depth=2
	s_or_b64 exec, exec, s[8:9]
	v_lshlrev_b16_e32 v3, 6, v5
	v_cmp_ne_u32_e32 vcc, v4, v5
	v_or_b32_e32 v3, v3, v10
	s_orn2_b64 s[8:9], vcc, exec
.LBB0_45:                               ;   in Loop: Header=BB0_37 Depth=2
	s_or_b64 exec, exec, s[4:5]
	s_andn2_b64 s[4:5], s[42:43], exec
	s_and_b64 s[8:9], s[8:9], exec
	s_or_b64 s[42:43], s[4:5], s[8:9]
.LBB0_46:                               ;   in Loop: Header=BB0_37 Depth=2
	s_or_b64 exec, exec, s[44:45]
	s_and_b64 exec, exec, s[42:43]
	s_cbranch_execz .LBB0_49
; %bb.47:                               ;   in Loop: Header=BB0_37 Depth=2
	s_mov_b64 s[4:5], 0
.LBB0_48:                               ;   Parent Loop BB0_4 Depth=1
                                        ;     Parent Loop BB0_37 Depth=2
                                        ; =>    This Inner Loop Header: Depth=3
	v_add_u16_e32 v4, 1, v3
	v_bfe_i32 v5, v3, 0, 16
	v_add_u16_e32 v3, 64, v3
	v_cmp_le_i32_sdwa s[8:9], sext(v38), sext(v3) src0_sel:WORD_0 src1_sel:WORD_0
	v_lshl_add_u32 v5, v5, 1, v17
	s_or_b64 s[4:5], s[8:9], s[4:5]
	ds_write_b16 v5, v4
	s_andn2_b64 exec, exec, s[4:5]
	s_cbranch_execnz .LBB0_48
.LBB0_49:                               ;   in Loop: Header=BB0_37 Depth=2
	s_or_b64 exec, exec, s[40:41]
	v_cmp_lt_i16_e32 vcc, 1, v30
	s_and_saveexec_b64 s[4:5], vcc
	s_cbranch_execz .LBB0_61
; %bb.50:                               ;   in Loop: Header=BB0_37 Depth=2
	v_mov_b32_e32 v4, 0
	s_mov_b64 s[8:9], 0
	s_mov_b32 s46, 0
	v_mov_b32_e32 v3, v38
	s_branch .LBB0_52
.LBB0_51:                               ;   in Loop: Header=BB0_52 Depth=3
	s_or_b64 exec, exec, s[40:41]
	s_add_i32 s46, s46, 1
	s_sext_i32_i16 s40, s46
	v_cmp_ge_i32_e32 vcc, s40, v38
	s_or_b64 s[8:9], vcc, s[8:9]
	s_andn2_b64 exec, exec, s[8:9]
	s_cbranch_execz .LBB0_61
.LBB0_52:                               ;   Parent Loop BB0_4 Depth=1
                                        ;     Parent Loop BB0_37 Depth=2
                                        ; =>    This Loop Header: Depth=3
                                        ;         Child Loop BB0_57 Depth 4
	s_and_saveexec_b64 s[40:41], s[0:1]
; %bb.53:                               ;   in Loop: Header=BB0_52 Depth=3
	ds_write_b32 v18, v27
; %bb.54:                               ;   in Loop: Header=BB0_52 Depth=3
	s_or_b64 exec, exec, s[40:41]
	v_cmp_gt_i16_e32 vcc, v3, v10
	s_and_saveexec_b64 s[40:41], vcc
	s_cbranch_execz .LBB0_59
; %bb.55:                               ;   in Loop: Header=BB0_52 Depth=3
	s_waitcnt lgkmcnt(0)
	v_bfe_i32 v5, v4, 0, 16
	s_waitcnt lgkmcnt(0)
	v_ashrrev_i32_e32 v6, 31, v5
	v_lshlrev_b64 v[6:7], 2, v[5:6]
	s_mov_b64 s[42:43], 0
	v_add_co_u32_e32 v8, vcc, v31, v6
	v_addc_co_u32_e32 v9, vcc, v32, v7, vcc
	v_add_co_u32_e32 v6, vcc, v33, v6
	v_addc_co_u32_e32 v7, vcc, v34, v7, vcc
	global_load_dword v5, v[8:9], off
	v_mov_b32_e32 v8, v10
	global_load_dword v6, v[6:7], off
	v_mov_b32_e32 v7, v10
	s_branch .LBB0_57
.LBB0_56:                               ;   in Loop: Header=BB0_57 Depth=4
	s_or_b64 exec, exec, s[44:45]
	v_lshl_add_u32 v7, v9, 9, v7
	ds_min_i32 v18, v7
	v_add_u16_e32 v8, 64, v8
	v_cmp_ge_i16_e32 vcc, v8, v3
	s_or_b64 s[42:43], vcc, s[42:43]
	v_bfe_i32 v7, v8, 0, 16
	s_andn2_b64 exec, exec, s[42:43]
	s_cbranch_execz .LBB0_59
.LBB0_57:                               ;   Parent Loop BB0_4 Depth=1
                                        ;     Parent Loop BB0_37 Depth=2
                                        ;       Parent Loop BB0_52 Depth=3
                                        ; =>      This Inner Loop Header: Depth=4
	v_bfe_i32 v8, v8, 0, 16
	v_lshl_add_u32 v9, v8, 1, v17
	ds_read_u16 v40, v9
	v_lshl_add_u32 v39, v8, 2, v14
	ds_read_b32 v9, v39
	s_waitcnt lgkmcnt(1)
	v_bfe_i32 v40, v40, 0, 16
	v_ashrrev_i32_e32 v41, 31, v40
	v_lshlrev_b64 v[40:41], 2, v[40:41]
	v_add_co_u32_e32 v42, vcc, v31, v40
	v_addc_co_u32_e32 v43, vcc, v32, v41, vcc
	v_add_co_u32_e32 v40, vcc, v33, v40
	v_addc_co_u32_e32 v41, vcc, v34, v41, vcc
	global_load_dword v42, v[42:43], off
	s_nop 0
	global_load_dword v40, v[40:41], off
	s_waitcnt vmcnt(1)
	v_sub_u32_e32 v41, v5, v42
	v_sub_u32_e32 v42, 0, v41
	s_waitcnt vmcnt(0)
	v_sub_u32_e32 v40, v6, v40
	v_sub_u32_e32 v43, 0, v40
	v_max_i32_e32 v41, v41, v42
	v_max_i32_e32 v40, v40, v43
	v_add_u32_e32 v40, v40, v41
	s_waitcnt lgkmcnt(0)
	v_cmp_gt_i32_e32 vcc, v9, v40
	s_and_saveexec_b64 s[44:45], vcc
	s_cbranch_execz .LBB0_56
; %bb.58:                               ;   in Loop: Header=BB0_57 Depth=4
	v_lshl_add_u32 v9, v8, 1, v19
	ds_write_b32 v39, v40
	ds_write_b16 v9, v4
	v_mov_b32_e32 v9, v40
	s_branch .LBB0_56
.LBB0_59:                               ;   in Loop: Header=BB0_52 Depth=3
	s_or_b64 exec, exec, s[40:41]
	s_waitcnt lgkmcnt(0)
	ds_read_b32 v4, v18
	v_add_u16_e32 v3, -1, v3
	s_waitcnt lgkmcnt(0)
	v_ashrrev_i32_e32 v5, 31, v4
	v_lshrrev_b32_e32 v5, 23, v5
	v_add_u32_e32 v5, v4, v5
	v_and_b32_e32 v5, 0xfe00, v5
	v_sub_u32_e32 v4, v4, v5
	v_bfe_i32 v6, v4, 0, 16
	v_lshl_add_u32 v5, v6, 1, v17
	ds_read_u16 v4, v5
	s_and_saveexec_b64 s[40:41], s[0:1]
	s_cbranch_execz .LBB0_51
; %bb.60:                               ;   in Loop: Header=BB0_52 Depth=3
	v_bfe_i32 v40, v3, 0, 16
	v_lshl_add_u32 v9, v6, 1, v19
	v_lshl_add_u32 v41, v40, 2, v14
	v_lshlrev_b32_e32 v40, 1, v40
	ds_read_u16 v39, v9
	v_add_u32_e32 v42, v19, v40
	v_add_u32_e32 v40, v17, v40
	s_sext_i32_i16 s42, s46
	ds_read_b32 v41, v41
	ds_read_u16 v42, v42
	ds_read_u16 v40, v40
	s_ashr_i32 s43, s42, 31
	s_lshl_b64 s[42:43], s[42:43], 2
	v_mov_b32_e32 v8, s43
	v_add_co_u32_e32 v7, vcc, s42, v35
	v_addc_co_u32_e32 v8, vcc, v36, v8, vcc
	s_waitcnt lgkmcnt(3)
	v_perm_b32 v39, v4, v39, s7
	v_lshl_add_u32 v6, v6, 2, v14
	global_store_dword v[7:8], v39, off
	s_waitcnt lgkmcnt(2)
	ds_write_b32 v6, v41
	s_waitcnt lgkmcnt(2)
	ds_write_b16 v9, v42
	s_waitcnt lgkmcnt(2)
	ds_write_b16 v5, v40
	s_branch .LBB0_51
.LBB0_61:                               ;   in Loop: Header=BB0_37 Depth=2
	s_or_b64 exec, exec, s[4:5]
	v_cmp_gt_i16_e32 vcc, v30, v10
	s_and_saveexec_b64 s[8:9], vcc
	s_cbranch_execz .LBB0_65
; %bb.62:                               ;   in Loop: Header=BB0_37 Depth=2
	v_and_b32_e32 v37, 0xffff, v30
	s_mov_b64 s[40:41], 0
	v_mov_b32_e32 v3, v25
	s_waitcnt lgkmcnt(0)
	v_mov_b32_e32 v4, v10
.LBB0_63:                               ;   Parent Loop BB0_4 Depth=1
                                        ;     Parent Loop BB0_37 Depth=2
                                        ; =>    This Inner Loop Header: Depth=3
	v_add_u32_e32 v4, 64, v4
	v_cmp_ge_u32_e64 s[4:5], v4, v37
	ds_write_b32 v3, v26
	s_or_b64 s[40:41], s[4:5], s[40:41]
	v_add_u32_e32 v3, 0x100, v3
	s_andn2_b64 exec, exec, s[40:41]
	s_cbranch_execnz .LBB0_63
; %bb.64:                               ;   in Loop: Header=BB0_37 Depth=2
	s_or_b64 exec, exec, s[40:41]
	v_add_u32_e32 v38, -1, v37
.LBB0_65:                               ;   in Loop: Header=BB0_37 Depth=2
	s_or_b64 exec, exec, s[8:9]
	v_cmp_gt_i32_e64 s[4:5], v38, v10
	s_and_saveexec_b64 s[8:9], s[4:5]
	s_cbranch_execz .LBB0_72
; %bb.66:                               ;   in Loop: Header=BB0_37 Depth=2
	s_mov_b64 s[40:41], 0
	v_mov_b32_e32 v39, v10
	s_branch .LBB0_68
.LBB0_67:                               ;   in Loop: Header=BB0_68 Depth=3
	s_or_b64 exec, exec, s[4:5]
	v_add_u16_e32 v39, 64, v39
	v_cmp_le_i32_sdwa s[4:5], v38, sext(v39) src0_sel:DWORD src1_sel:WORD_0
	s_or_b64 s[40:41], s[4:5], s[40:41]
	s_andn2_b64 exec, exec, s[40:41]
	s_cbranch_execz .LBB0_72
.LBB0_68:                               ;   Parent Loop BB0_4 Depth=1
                                        ;     Parent Loop BB0_37 Depth=2
                                        ; =>    This Inner Loop Header: Depth=3
	v_bfe_i32 v40, v39, 0, 16
	v_ashrrev_i32_e32 v41, 31, v40
	s_waitcnt lgkmcnt(0)
	v_lshlrev_b64 v[3:4], 2, v[40:41]
	v_lshl_add_u32 v40, v40, 2, v14
	v_add_co_u32_e64 v3, s[4:5], v35, v3
	v_addc_co_u32_e64 v4, s[4:5], v36, v4, s[4:5]
	global_load_dword v3, v[3:4], off
	s_waitcnt vmcnt(0)
	v_bfe_i32 v5, v3, 0, 16
	v_lshrrev_b32_e32 v4, 16, v3
	v_ashrrev_i32_e32 v6, 31, v5
	v_bfe_i32 v3, v4, 0, 16
	v_lshlrev_b64 v[6:7], 2, v[5:6]
	v_ashrrev_i32_e32 v4, 31, v3
	v_lshlrev_b64 v[8:9], 2, v[3:4]
	v_add_co_u32_e64 v41, s[4:5], v31, v6
	v_addc_co_u32_e64 v42, s[4:5], v32, v7, s[4:5]
	v_add_co_u32_e64 v43, s[4:5], v31, v8
	v_addc_co_u32_e64 v44, s[4:5], v32, v9, s[4:5]
	global_load_dword v4, v[43:44], off
	s_nop 0
	global_load_dword v41, v[41:42], off
	v_mov_b32_e32 v42, -1
	ds_write_b32 v40, v42
	s_waitcnt vmcnt(0)
	v_cmp_ne_u32_e64 s[42:43], v4, v41
	v_cmp_eq_u32_e64 s[4:5], v4, v41
	s_and_saveexec_b64 s[44:45], s[4:5]
	s_cbranch_execz .LBB0_70
; %bb.69:                               ;   in Loop: Header=BB0_68 Depth=3
	v_add_co_u32_e64 v8, s[4:5], v33, v8
	v_addc_co_u32_e64 v9, s[4:5], v34, v9, s[4:5]
	v_add_co_u32_e64 v6, s[4:5], v33, v6
	v_addc_co_u32_e64 v7, s[4:5], v34, v7, s[4:5]
	global_load_dword v4, v[8:9], off
	s_nop 0
	global_load_dword v6, v[6:7], off
	s_andn2_b64 s[42:43], s[42:43], exec
	s_waitcnt vmcnt(0)
	v_cmp_ne_u32_e64 s[4:5], v4, v6
	s_and_b64 s[4:5], s[4:5], exec
	s_or_b64 s[42:43], s[42:43], s[4:5]
.LBB0_70:                               ;   in Loop: Header=BB0_68 Depth=3
	s_or_b64 exec, exec, s[44:45]
	s_and_saveexec_b64 s[4:5], s[42:43]
	s_cbranch_execz .LBB0_67
; %bb.71:                               ;   in Loop: Header=BB0_68 Depth=3
	v_lshl_add_u32 v4, v5, 2, v20
	ds_add_rtn_u32 v4, v4, v28
	v_lshlrev_b32_e32 v5, 4, v5
	s_waitcnt lgkmcnt(0)
	v_lshlrev_b32_e32 v4, 1, v4
	v_add3_u32 v4, v21, v5, v4
	ds_write_b16 v4, v39
	v_lshl_add_u32 v4, v3, 2, v20
	ds_add_rtn_u32 v4, v4, v28
	v_lshlrev_b32_e32 v3, 4, v3
	s_waitcnt lgkmcnt(0)
	v_lshlrev_b32_e32 v4, 1, v4
	v_add3_u32 v3, v21, v3, v4
	ds_write_b16 v3, v39
	s_branch .LBB0_67
.LBB0_72:                               ;   in Loop: Header=BB0_37 Depth=2
	s_or_b64 exec, exec, s[8:9]
	s_and_saveexec_b64 s[4:5], vcc
	s_cbranch_execz .LBB0_87
; %bb.73:                               ;   in Loop: Header=BB0_37 Depth=2
	s_mov_b64 s[8:9], 0
	v_mov_b32_e32 v3, v10
	s_branch .LBB0_75
.LBB0_74:                               ;   in Loop: Header=BB0_75 Depth=3
	s_or_b64 exec, exec, s[40:41]
	v_add_u16_e32 v3, 64, v3
	v_cmp_ge_i16_e32 vcc, v3, v30
	s_or_b64 s[8:9], vcc, s[8:9]
	s_andn2_b64 exec, exec, s[8:9]
	s_cbranch_execz .LBB0_87
.LBB0_75:                               ;   Parent Loop BB0_4 Depth=1
                                        ;     Parent Loop BB0_37 Depth=2
                                        ; =>    This Loop Header: Depth=3
                                        ;         Child Loop BB0_78 Depth 4
                                        ;           Child Loop BB0_83 Depth 5
	v_bfe_i32 v3, v3, 0, 16
	s_waitcnt lgkmcnt(0)
	v_lshl_add_u32 v4, v3, 2, v20
	ds_read_b32 v8, v4
	s_waitcnt lgkmcnt(0)
	v_cmp_lt_i32_e32 vcc, 1, v8
	s_and_saveexec_b64 s[40:41], vcc
	s_cbranch_execz .LBB0_74
; %bb.76:                               ;   in Loop: Header=BB0_75 Depth=3
	v_ashrrev_i32_e32 v4, 31, v3
	v_lshlrev_b64 v[4:5], 2, v[3:4]
	v_lshl_add_u32 v39, v3, 4, v21
	v_add_co_u32_e32 v6, vcc, v31, v4
	s_waitcnt vmcnt(0)
	v_addc_co_u32_e32 v7, vcc, v32, v5, vcc
	v_add_co_u32_e32 v4, vcc, v33, v4
	v_addc_co_u32_e32 v5, vcc, v34, v5, vcc
	global_load_dword v9, v[6:7], off
	global_load_dword v38, v[4:5], off
	s_mov_b32 s56, 0
	s_mov_b64 s[42:43], 0
	s_branch .LBB0_78
.LBB0_77:                               ;   in Loop: Header=BB0_78 Depth=4
	s_or_b64 exec, exec, s[44:45]
	v_add_u32_e32 v4, -1, v8
	v_cmp_ge_i32_e32 vcc, s57, v4
	s_or_b64 s[42:43], vcc, s[42:43]
	s_andn2_b64 exec, exec, s[42:43]
	s_cbranch_execz .LBB0_74
.LBB0_78:                               ;   Parent Loop BB0_4 Depth=1
                                        ;     Parent Loop BB0_37 Depth=2
                                        ;       Parent Loop BB0_75 Depth=3
                                        ; =>      This Loop Header: Depth=4
                                        ;           Child Loop BB0_83 Depth 5
	s_sext_i32_i8 s44, s56
	v_lshl_add_u32 v4, s44, 1, v39
	ds_read_u16 v4, v4
	s_waitcnt lgkmcnt(0)
	v_bfe_i32 v4, v4, 0, 16
	v_ashrrev_i32_e32 v5, 31, v4
	v_lshlrev_b64 v[5:6], 2, v[4:5]
	v_add_co_u32_e32 v5, vcc, v35, v5
	v_addc_co_u32_e32 v6, vcc, v36, v6, vcc
	global_load_ushort v7, v[5:6], off
	s_waitcnt vmcnt(0)
	v_cmp_eq_u16_e32 vcc, v3, v7
	s_and_saveexec_b64 s[44:45], vcc
	s_cbranch_execz .LBB0_80
; %bb.79:                               ;   in Loop: Header=BB0_78 Depth=4
	global_load_ushort v7, v[5:6], off offset:2
.LBB0_80:                               ;   in Loop: Header=BB0_78 Depth=4
	s_or_b64 exec, exec, s[44:45]
	s_add_i32 s56, s56, 1
	s_sext_i32_i8 s57, s56
	v_cmp_lt_i32_e32 vcc, s57, v8
	s_and_saveexec_b64 s[44:45], vcc
	s_cbranch_execz .LBB0_77
; %bb.81:                               ;   in Loop: Header=BB0_78 Depth=4
	s_waitcnt vmcnt(0)
	v_bfe_i32 v5, v7, 0, 16
	v_ashrrev_i32_e32 v6, 31, v5
	v_lshlrev_b64 v[5:6], 2, v[5:6]
	s_mov_b64 s[46:47], 0
	v_add_co_u32_e32 v40, vcc, v31, v5
	v_addc_co_u32_e32 v41, vcc, v32, v6, vcc
	v_add_co_u32_e32 v5, vcc, v33, v5
	v_addc_co_u32_e32 v6, vcc, v34, v6, vcc
	global_load_dword v7, v[40:41], off
	v_lshl_add_u32 v40, v4, 2, v14
	global_load_dword v5, v[5:6], off
	s_mov_b32 s58, s56
	s_waitcnt vmcnt(1)
	v_min_i32_e32 v41, v9, v7
	v_max_i32_e32 v42, v9, v7
	s_waitcnt vmcnt(0)
	v_min_i32_e32 v43, v38, v5
	v_max_i32_e32 v44, v38, v5
	s_branch .LBB0_83
.LBB0_82:                               ;   in Loop: Header=BB0_83 Depth=5
	s_or_b64 exec, exec, s[48:49]
	s_add_i32 s58, s58, 1
	s_sext_i32_i8 s48, s58
	v_cmp_ge_i32_e32 vcc, s48, v8
	s_or_b64 s[46:47], vcc, s[46:47]
	s_andn2_b64 exec, exec, s[46:47]
	s_cbranch_execz .LBB0_77
.LBB0_83:                               ;   Parent Loop BB0_4 Depth=1
                                        ;     Parent Loop BB0_37 Depth=2
                                        ;       Parent Loop BB0_75 Depth=3
                                        ;         Parent Loop BB0_78 Depth=4
                                        ; =>        This Inner Loop Header: Depth=5
	s_sext_i32_i8 s48, s58
	v_lshl_add_u32 v5, s48, 1, v39
	ds_read_u16 v5, v5
	s_waitcnt lgkmcnt(0)
	v_bfe_i32 v5, v5, 0, 16
	v_ashrrev_i32_e32 v6, 31, v5
	v_lshlrev_b64 v[6:7], 2, v[5:6]
	v_add_co_u32_e32 v6, vcc, v35, v6
	v_addc_co_u32_e32 v7, vcc, v36, v7, vcc
	global_load_ushort v45, v[6:7], off
	s_waitcnt vmcnt(0)
	v_cmp_eq_u16_e32 vcc, v3, v45
	s_and_saveexec_b64 s[48:49], vcc
	s_cbranch_execz .LBB0_85
; %bb.84:                               ;   in Loop: Header=BB0_83 Depth=5
	global_load_ushort v45, v[6:7], off offset:2
.LBB0_85:                               ;   in Loop: Header=BB0_83 Depth=5
	s_or_b64 exec, exec, s[48:49]
	s_waitcnt vmcnt(0)
	v_bfe_i32 v6, v45, 0, 16
	v_ashrrev_i32_e32 v7, 31, v6
	v_lshlrev_b64 v[6:7], 2, v[6:7]
	v_add_co_u32_e32 v45, vcc, v31, v6
	v_addc_co_u32_e32 v46, vcc, v32, v7, vcc
	v_add_co_u32_e32 v6, vcc, v33, v6
	v_addc_co_u32_e32 v7, vcc, v34, v7, vcc
	global_load_dword v45, v[45:46], off
	s_nop 0
	global_load_dword v6, v[6:7], off
	s_waitcnt vmcnt(1)
	v_min_i32_e32 v7, v42, v45
	v_max_i32_e32 v7, v41, v7
	s_waitcnt vmcnt(0)
	v_min_i32_e32 v6, v44, v6
	v_max_i32_e32 v6, v43, v6
	v_sub_u32_e32 v7, v7, v9
	v_sub_u32_e32 v6, v6, v38
	;; [unrolled: 1-line block ×4, first 2 shown]
	v_max_i32_e32 v7, v7, v45
	v_max_i32_e32 v6, v6, v46
	v_add_u32_e32 v6, v6, v7
	v_cmp_ne_u32_e32 vcc, 0, v6
	s_and_saveexec_b64 s[48:49], vcc
	s_cbranch_execz .LBB0_82
; %bb.86:                               ;   in Loop: Header=BB0_83 Depth=5
	v_lshlrev_b32_e32 v6, 9, v6
	v_lshl_add_u32 v7, v5, 2, v14
	v_add_u32_e32 v5, v6, v5
	v_add_u32_e32 v6, v6, v4
	ds_max_i32 v40, v5
	ds_max_i32 v7, v6
	s_branch .LBB0_82
.LBB0_87:                               ;   in Loop: Header=BB0_37 Depth=2
	s_or_b64 exec, exec, s[4:5]
	s_waitcnt lgkmcnt(0)
	v_add_u32_e32 v6, -2, v37
	s_mov_b64 s[4:5], 0
	s_waitcnt vmcnt(0)
	v_mov_b32_e32 v7, v30
	v_mov_b32_e32 v3, v10
                                        ; implicit-def: $vgpr4
                                        ; implicit-def: $vgpr5
	s_branch .LBB0_90
.LBB0_88:                               ;   in Loop: Header=BB0_90 Depth=3
	s_or_b64 exec, exec, s[40:41]
	s_bcnt1_i32_b64 s4, vcc
	v_add_u16_e32 v7, s4, v30
	v_add_u16_e32 v3, 64, v3
	s_mov_b64 s[4:5], 0
.LBB0_89:                               ;   in Loop: Header=BB0_90 Depth=3
	s_and_b64 vcc, exec, s[4:5]
	s_andn2_b64 s[4:5], s[8:9], exec
	s_and_b64 s[40:41], s[42:43], exec
	s_or_b64 s[4:5], s[4:5], s[40:41]
	s_cbranch_vccnz .LBB0_36
.LBB0_90:                               ;   Parent Loop BB0_4 Depth=1
                                        ;     Parent Loop BB0_37 Depth=2
                                        ; =>    This Inner Loop Header: Depth=3
	v_bfe_i32 v3, v3, 0, 16
	v_mov_b32_e32 v30, v7
	s_mov_b64 s[8:9], s[4:5]
	v_cmp_gt_i32_e32 vcc, v6, v3
	s_cbranch_vccz .LBB0_103
; %bb.91:                               ;   in Loop: Header=BB0_90 Depth=3
	s_mov_b64 s[4:5], 0
	s_mov_b64 s[42:43], s[8:9]
	s_and_saveexec_b64 s[40:41], vcc
	s_cbranch_execz .LBB0_101
; %bb.92:                               ;   in Loop: Header=BB0_90 Depth=3
	v_lshl_add_u32 v7, v3, 2, v14
	ds_read_b32 v7, v7
	s_mov_b64 s[44:45], 0
	s_mov_b64 s[46:47], s[8:9]
	s_waitcnt lgkmcnt(0)
	v_cmp_lt_i32_e32 vcc, 0, v7
	v_and_b32_e32 v7, 0x1ff, v7
	v_cmp_gt_i32_e64 s[4:5], v7, v3
	s_and_b64 s[4:5], vcc, s[4:5]
	s_and_saveexec_b64 s[42:43], s[4:5]
	s_cbranch_execz .LBB0_100
; %bb.93:                               ;   in Loop: Header=BB0_90 Depth=3
	v_lshl_add_u32 v8, v7, 2, v14
	ds_read_b32 v8, v8
	s_mov_b64 s[4:5], 0
	s_mov_b64 s[46:47], s[8:9]
	s_waitcnt lgkmcnt(0)
	v_ashrrev_i32_e32 v9, 31, v8
	v_lshrrev_b32_e32 v9, 23, v9
	v_add_u32_e32 v9, v8, v9
	v_and_b32_e32 v9, 0xfffffe00, v9
	v_sub_u32_e32 v8, v8, v9
	v_cmp_eq_u32_e32 vcc, v8, v3
	s_and_saveexec_b64 s[44:45], vcc
	s_cbranch_execz .LBB0_99
; %bb.94:                               ;   in Loop: Header=BB0_90 Depth=3
	v_ashrrev_i32_e32 v4, 31, v3
	v_lshlrev_b64 v[4:5], 2, v[3:4]
	v_add_co_u32_e32 v4, vcc, v35, v4
	v_addc_co_u32_e32 v5, vcc, v36, v5, vcc
	global_load_dword v8, v[4:5], off
	v_lshlrev_b32_e32 v4, 2, v7
	v_add_co_u32_e32 v4, vcc, v35, v4
	v_addc_co_u32_e32 v5, vcc, 0, v36, vcc
	global_load_ushort v9, v[4:5], off
	s_waitcnt vmcnt(1)
	v_bfe_i32 v7, v8, 0, 16
	v_lshrrev_b32_e32 v38, 16, v8
	v_ashrrev_i32_e32 v8, 31, v7
	v_lshlrev_b64 v[7:8], 2, v[7:8]
	v_bfe_i32 v39, v38, 0, 16
	v_add_co_u32_e32 v42, vcc, v31, v7
	s_waitcnt vmcnt(0)
	v_bfe_i32 v37, v9, 0, 16
	v_ashrrev_i32_e32 v38, 31, v37
	v_addc_co_u32_e32 v43, vcc, v32, v8, vcc
	v_lshlrev_b64 v[37:38], 2, v[37:38]
	v_add_co_u32_e32 v44, vcc, v33, v7
	v_addc_co_u32_e32 v45, vcc, v34, v8, vcc
	v_add_co_u32_e32 v46, vcc, v31, v37
	v_ashrrev_i32_e32 v40, 31, v39
	v_addc_co_u32_e32 v47, vcc, v32, v38, vcc
	v_lshlrev_b64 v[40:41], 2, v[39:40]
	v_add_co_u32_e32 v48, vcc, v33, v37
	v_addc_co_u32_e32 v49, vcc, v34, v38, vcc
	global_load_dword v7, v[42:43], off
	global_load_dword v8, v[44:45], off
	v_add_co_u32_e32 v42, vcc, v31, v40
	global_load_dword v38, v[46:47], off
	global_load_dword v39, v[48:49], off
	v_addc_co_u32_e32 v43, vcc, v32, v41, vcc
	v_add_co_u32_e32 v40, vcc, v33, v40
	v_addc_co_u32_e32 v41, vcc, v34, v41, vcc
	global_load_dword v9, v[42:43], off
	global_load_dword v37, v[40:41], off
	s_waitcnt vmcnt(3)
	v_cmp_eq_u32_e32 vcc, v38, v7
	s_waitcnt vmcnt(2)
	v_cmp_eq_u32_e64 s[4:5], v39, v8
	s_and_b64 s[46:47], vcc, s[4:5]
	s_xor_b64 s[4:5], s[46:47], -1
	s_and_saveexec_b64 s[48:49], s[4:5]
	s_cbranch_execz .LBB0_96
; %bb.95:                               ;   in Loop: Header=BB0_90 Depth=3
	s_waitcnt vmcnt(1)
	v_cmp_eq_u32_e32 vcc, v38, v9
	s_waitcnt vmcnt(0)
	v_cmp_eq_u32_e64 s[4:5], v39, v37
	s_and_b64 s[4:5], vcc, s[4:5]
	s_andn2_b64 s[46:47], s[46:47], exec
	s_and_b64 s[4:5], s[4:5], exec
	s_or_b64 s[46:47], s[46:47], s[4:5]
.LBB0_96:                               ;   in Loop: Header=BB0_90 Depth=3
	s_or_b64 exec, exec, s[48:49]
	s_and_saveexec_b64 s[4:5], s[46:47]
	s_cbranch_execz .LBB0_98
; %bb.97:                               ;   in Loop: Header=BB0_90 Depth=3
	global_load_ushort v4, v[4:5], off offset:2
	s_waitcnt vmcnt(0)
	v_bfe_i32 v4, v4, 0, 16
	v_ashrrev_i32_e32 v5, 31, v4
	v_lshlrev_b64 v[4:5], 2, v[4:5]
	v_add_co_u32_e32 v38, vcc, v31, v4
	v_addc_co_u32_e32 v39, vcc, v32, v5, vcc
	v_add_co_u32_e32 v4, vcc, v33, v4
	v_addc_co_u32_e32 v5, vcc, v34, v5, vcc
	global_load_dword v38, v[38:39], off
	s_nop 0
	global_load_dword v39, v[4:5], off
.LBB0_98:                               ;   in Loop: Header=BB0_90 Depth=3
	s_or_b64 exec, exec, s[4:5]
	s_mov_b64 s[4:5], exec
	s_waitcnt vmcnt(1)
	v_med3_i32 v4, v7, v9, v38
	s_waitcnt vmcnt(0)
	v_med3_i32 v5, v8, v37, v39
	s_or_b64 s[46:47], s[8:9], exec
.LBB0_99:                               ;   in Loop: Header=BB0_90 Depth=3
	s_or_b64 exec, exec, s[44:45]
	s_andn2_b64 s[44:45], s[8:9], exec
	s_and_b64 s[46:47], s[46:47], exec
	s_or_b64 s[46:47], s[44:45], s[46:47]
	s_and_b64 s[44:45], s[4:5], exec
.LBB0_100:                              ;   in Loop: Header=BB0_90 Depth=3
	s_or_b64 exec, exec, s[42:43]
	s_and_b64 s[4:5], s[44:45], exec
	s_andn2_b64 s[42:43], s[8:9], exec
	s_and_b64 s[44:45], s[46:47], exec
	s_or_b64 s[42:43], s[42:43], s[44:45]
.LBB0_101:                              ;   in Loop: Header=BB0_90 Depth=3
	s_or_b64 exec, exec, s[40:41]
	v_cndmask_b32_e64 v7, 0, 1, s[4:5]
	v_cmp_ne_u32_e32 vcc, 0, v7
	s_and_saveexec_b64 s[40:41], s[4:5]
	s_cbranch_execz .LBB0_88
; %bb.102:                              ;   in Loop: Header=BB0_90 Depth=3
	v_and_b32_e32 v8, vcc_lo, v16
	v_and_b32_e32 v7, vcc_hi, v15
	v_bcnt_u32_b32 v8, v8, 0
	v_bcnt_u32_b32 v7, v7, v8
	v_bfe_i32 v8, v30, 0, 16
	v_ashrrev_i32_e32 v9, 31, v8
	v_add_co_u32_e64 v7, s[4:5], v7, v8
	v_addc_co_u32_e64 v8, s[4:5], 0, v9, s[4:5]
	v_lshlrev_b64 v[7:8], 2, v[7:8]
	v_add_co_u32_e64 v37, s[4:5], v31, v7
	v_addc_co_u32_e64 v38, s[4:5], v32, v8, s[4:5]
	v_add_co_u32_e64 v7, s[4:5], v33, v7
	v_addc_co_u32_e64 v8, s[4:5], v34, v8, s[4:5]
	global_store_dword v[37:38], v4, off
	global_store_dword v[7:8], v5, off
	s_branch .LBB0_88
.LBB0_103:                              ;   in Loop: Header=BB0_90 Depth=3
	s_mov_b64 s[4:5], -1
                                        ; implicit-def: $sgpr42_sgpr43
                                        ; implicit-def: $vgpr3
                                        ; implicit-def: $vgpr5
                                        ; implicit-def: $vgpr4
                                        ; implicit-def: $vgpr7
	s_branch .LBB0_89
.LBB0_104:                              ;   in Loop: Header=BB0_4 Depth=1
	s_or_b64 exec, exec, s[38:39]
	s_andn2_b64 s[34:35], s[34:35], exec
	s_or_b64 exec, exec, s[36:37]
	s_and_saveexec_b64 s[4:5], s[34:35]
	s_xor_b64 s[4:5], exec, s[4:5]
	s_cbranch_execz .LBB0_2
.LBB0_105:                              ;   in Loop: Header=BB0_4 Depth=1
	s_and_saveexec_b64 s[8:9], s[0:1]
	s_xor_b64 s[8:9], exec, s[8:9]
	s_cbranch_execz .LBB0_1
; %bb.106:                              ;   in Loop: Header=BB0_4 Depth=1
	v_ashrrev_i32_e32 v3, 31, v2
	v_lshlrev_b64 v[2:3], 2, v[2:3]
	v_mov_b32_e32 v4, s25
	v_add_co_u32_e32 v2, vcc, s24, v2
	v_addc_co_u32_e32 v3, vcc, v4, v3, vcc
	v_mov_b32_e32 v4, 0x10000
	global_store_dword v[2:3], v4, off
	s_branch .LBB0_1
.LBB0_107:
	s_or_b64 exec, exec, s[28:29]
	v_or_b32_e32 v0, s6, v0
	v_cmp_eq_u32_e32 vcc, 0, v0
	s_and_saveexec_b64 s[0:1], vcc
	s_cbranch_execz .LBB0_109
; %bb.108:
	s_ashr_i32 s11, s10, 31
	s_lshl_b64 s[0:1], s[10:11], 2
	s_add_u32 s2, s18, s0
	s_addc_u32 s3, s19, s1
	s_add_u32 s0, s12, s0
	s_addc_u32 s1, s13, s1
	s_load_dword s0, s[0:1], 0x0
	v_mov_b32_e32 v0, 0
	s_waitcnt lgkmcnt(0)
	s_lshl_b32 s0, s0, 1
	v_mov_b32_e32 v1, s0
	global_store_dword v0, v1, s[2:3]
.LBB0_109:
	s_endpgm
	.section	.rodata,"a",@progbits
	.p2align	6, 0x0
	.amdhsa_kernel _ZL14largeNetKernelILi12ELi64EEvPKiS1_S1_PiS2_S2_P4edgeiS2_
		.amdhsa_group_segment_fixed_size 21552
		.amdhsa_private_segment_fixed_size 0
		.amdhsa_kernarg_size 72
		.amdhsa_user_sgpr_count 6
		.amdhsa_user_sgpr_private_segment_buffer 1
		.amdhsa_user_sgpr_dispatch_ptr 0
		.amdhsa_user_sgpr_queue_ptr 0
		.amdhsa_user_sgpr_kernarg_segment_ptr 1
		.amdhsa_user_sgpr_dispatch_id 0
		.amdhsa_user_sgpr_flat_scratch_init 0
		.amdhsa_user_sgpr_private_segment_size 0
		.amdhsa_uses_dynamic_stack 0
		.amdhsa_system_sgpr_private_segment_wavefront_offset 0
		.amdhsa_system_sgpr_workgroup_id_x 1
		.amdhsa_system_sgpr_workgroup_id_y 0
		.amdhsa_system_sgpr_workgroup_id_z 0
		.amdhsa_system_sgpr_workgroup_info 0
		.amdhsa_system_vgpr_workitem_id 0
		.amdhsa_next_free_vgpr 50
		.amdhsa_next_free_sgpr 61
		.amdhsa_reserve_vcc 1
		.amdhsa_reserve_flat_scratch 0
		.amdhsa_float_round_mode_32 0
		.amdhsa_float_round_mode_16_64 0
		.amdhsa_float_denorm_mode_32 3
		.amdhsa_float_denorm_mode_16_64 3
		.amdhsa_dx10_clamp 1
		.amdhsa_ieee_mode 1
		.amdhsa_fp16_overflow 0
		.amdhsa_exception_fp_ieee_invalid_op 0
		.amdhsa_exception_fp_denorm_src 0
		.amdhsa_exception_fp_ieee_div_zero 0
		.amdhsa_exception_fp_ieee_overflow 0
		.amdhsa_exception_fp_ieee_underflow 0
		.amdhsa_exception_fp_ieee_inexact 0
		.amdhsa_exception_int_div_zero 0
	.end_amdhsa_kernel
	.section	.text._ZL14largeNetKernelILi12ELi64EEvPKiS1_S1_PiS2_S2_P4edgeiS2_,"axG",@progbits,_ZL14largeNetKernelILi12ELi64EEvPKiS1_S1_PiS2_S2_P4edgeiS2_,comdat
.Lfunc_end0:
	.size	_ZL14largeNetKernelILi12ELi64EEvPKiS1_S1_PiS2_S2_P4edgeiS2_, .Lfunc_end0-_ZL14largeNetKernelILi12ELi64EEvPKiS1_S1_PiS2_S2_P4edgeiS2_
                                        ; -- End function
	.set _ZL14largeNetKernelILi12ELi64EEvPKiS1_S1_PiS2_S2_P4edgeiS2_.num_vgpr, 50
	.set _ZL14largeNetKernelILi12ELi64EEvPKiS1_S1_PiS2_S2_P4edgeiS2_.num_agpr, 0
	.set _ZL14largeNetKernelILi12ELi64EEvPKiS1_S1_PiS2_S2_P4edgeiS2_.numbered_sgpr, 59
	.set _ZL14largeNetKernelILi12ELi64EEvPKiS1_S1_PiS2_S2_P4edgeiS2_.num_named_barrier, 0
	.set _ZL14largeNetKernelILi12ELi64EEvPKiS1_S1_PiS2_S2_P4edgeiS2_.private_seg_size, 0
	.set _ZL14largeNetKernelILi12ELi64EEvPKiS1_S1_PiS2_S2_P4edgeiS2_.uses_vcc, 1
	.set _ZL14largeNetKernelILi12ELi64EEvPKiS1_S1_PiS2_S2_P4edgeiS2_.uses_flat_scratch, 0
	.set _ZL14largeNetKernelILi12ELi64EEvPKiS1_S1_PiS2_S2_P4edgeiS2_.has_dyn_sized_stack, 0
	.set _ZL14largeNetKernelILi12ELi64EEvPKiS1_S1_PiS2_S2_P4edgeiS2_.has_recursion, 0
	.set _ZL14largeNetKernelILi12ELi64EEvPKiS1_S1_PiS2_S2_P4edgeiS2_.has_indirect_call, 0
	.section	.AMDGPU.csdata,"",@progbits
; Kernel info:
; codeLenInByte = 4612
; TotalNumSgprs: 63
; NumVgprs: 50
; ScratchSize: 0
; MemoryBound: 0
; FloatMode: 240
; IeeeMode: 1
; LDSByteSize: 21552 bytes/workgroup (compile time only)
; SGPRBlocks: 8
; VGPRBlocks: 12
; NumSGPRsForWavesPerEU: 65
; NumVGPRsForWavesPerEU: 50
; Occupancy: 4
; WaveLimiterHint : 1
; COMPUTE_PGM_RSRC2:SCRATCH_EN: 0
; COMPUTE_PGM_RSRC2:USER_SGPR: 6
; COMPUTE_PGM_RSRC2:TRAP_HANDLER: 0
; COMPUTE_PGM_RSRC2:TGID_X_EN: 1
; COMPUTE_PGM_RSRC2:TGID_Y_EN: 0
; COMPUTE_PGM_RSRC2:TGID_Z_EN: 0
; COMPUTE_PGM_RSRC2:TIDIG_COMP_CNT: 0
	.section	.text._ZL14largeNetKernelILi24ELi64EEvPKiS1_S1_PiS2_S2_P4edgeiS2_,"axG",@progbits,_ZL14largeNetKernelILi24ELi64EEvPKiS1_S1_PiS2_S2_P4edgeiS2_,comdat
	.globl	_ZL14largeNetKernelILi24ELi64EEvPKiS1_S1_PiS2_S2_P4edgeiS2_ ; -- Begin function _ZL14largeNetKernelILi24ELi64EEvPKiS1_S1_PiS2_S2_P4edgeiS2_
	.p2align	8
	.type	_ZL14largeNetKernelILi24ELi64EEvPKiS1_S1_PiS2_S2_P4edgeiS2_,@function
_ZL14largeNetKernelILi24ELi64EEvPKiS1_S1_PiS2_S2_P4edgeiS2_: ; @_ZL14largeNetKernelILi24ELi64EEvPKiS1_S1_PiS2_S2_P4edgeiS2_
; %bb.0:
	v_mbcnt_lo_u32_b32 v1, -1, 0
	v_mbcnt_hi_u32_b32 v1, -1, v1
	s_load_dwordx8 s[12:19], s[4:5], 0x0
	s_load_dwordx4 s[20:23], s[4:5], 0x20
	s_load_dwordx2 s[24:25], s[4:5], 0x30
	s_load_dwordx2 s[26:27], s[4:5], 0x40
	s_load_dword s10, s[4:5], 0x38
	v_lshlrev_b32_e32 v1, 2, v1
	v_and_b32_e32 v11, 0x100, v1
	v_lshlrev_b64 v[1:2], v0, -1
	v_lshrrev_b32_e32 v3, 6, v0
	v_not_b32_e32 v16, v1
	v_lshlrev_b32_e32 v1, 7, v3
	v_and_b32_e32 v10, 63, v0
	v_or_b32_e32 v17, 0x9000, v1
	v_add_u32_e32 v19, 0x9c00, v1
	s_mov_b32 s7, 0x5040100
	v_mov_b32_e32 v1, 0x5040100
	v_lshlrev_b32_e32 v4, 8, v3
	v_perm_b32 v24, 3, v10, v1
	v_perm_b32 v1, v10, v10, s7
	v_not_b32_e32 v15, v2
	v_mov_b32_e32 v2, 0xa800
	v_or_b32_e32 v25, 0x400000, v1
	v_lshl_or_b32 v1, v10, 2, v4
	v_cmp_eq_u32_e64 s[0:1], 0, v10
	v_cmp_gt_u32_e64 s[2:3], 3, v10
	v_or_b32_e32 v12, 4, v11
	v_or_b32_e32 v13, 8, v11
	;; [unrolled: 1-line block ×3, first 2 shown]
	v_lshl_or_b32 v18, v3, 2, v2
	v_add_u32_e32 v20, 0x7800, v4
	v_lshlrev_b32_e32 v21, 10, v3
	v_not_b32_e32 v22, v10
	v_or_b32_e32 v23, 64, v10
	s_mov_b32 s11, 0x400000
	v_add_u32_e32 v26, 0x7800, v1
	s_mov_b64 s[28:29], 0
	v_mov_b32_e32 v27, 0
	s_mov_b32 s33, 0x2ffff
	s_mov_b32 s50, 0x30000
	;; [unrolled: 1-line block ×3, first 2 shown]
	v_bfrev_b32_e32 v28, -2
	s_movk_i32 s52, 0x2c0
	s_movk_i32 s53, 0x2bf
	;; [unrolled: 1-line block ×4, first 2 shown]
	v_mov_b32_e32 v29, -1
	v_mov_b32_e32 v30, 1
	v_mov_b32_e32 v31, 0x400000
	;; [unrolled: 1-line block ×4, first 2 shown]
                                        ; implicit-def: $vgpr1
	s_branch .LBB1_4
.LBB1_1:                                ;   in Loop: Header=BB1_4 Depth=1
	s_or_b64 exec, exec, s[8:9]
.LBB1_2:                                ;   in Loop: Header=BB1_4 Depth=1
	s_or_b64 exec, exec, s[4:5]
	s_xor_b64 s[4:5], exec, -1
.LBB1_3:                                ;   in Loop: Header=BB1_4 Depth=1
	s_or_b64 exec, exec, s[30:31]
	s_and_b64 s[4:5], exec, s[4:5]
	s_or_b64 s[28:29], s[4:5], s[28:29]
	s_andn2_b64 exec, exec, s[28:29]
	s_cbranch_execz .LBB1_107
.LBB1_4:                                ; =>This Loop Header: Depth=1
                                        ;     Child Loop BB1_13 Depth 2
                                        ;     Child Loop BB1_15 Depth 2
	;; [unrolled: 1-line block ×3, first 2 shown]
                                        ;       Child Loop BB1_39 Depth 3
                                        ;       Child Loop BB1_43 Depth 3
	;; [unrolled: 1-line block ×4, first 2 shown]
                                        ;         Child Loop BB1_57 Depth 4
                                        ;       Child Loop BB1_63 Depth 3
                                        ;       Child Loop BB1_68 Depth 3
	;; [unrolled: 1-line block ×3, first 2 shown]
                                        ;         Child Loop BB1_78 Depth 4
                                        ;           Child Loop BB1_83 Depth 5
                                        ;       Child Loop BB1_90 Depth 3
	s_and_saveexec_b64 s[4:5], s[0:1]
	s_cbranch_execz .LBB1_8
; %bb.5:                                ;   in Loop: Header=BB1_4 Depth=1
	s_mov_b64 s[30:31], exec
	v_mbcnt_lo_u32_b32 v1, s30, 0
	v_mbcnt_hi_u32_b32 v1, s31, v1
	v_cmp_eq_u32_e32 vcc, 0, v1
                                        ; implicit-def: $vgpr2
	s_and_saveexec_b64 s[8:9], vcc
	s_cbranch_execz .LBB1_7
; %bb.6:                                ;   in Loop: Header=BB1_4 Depth=1
	s_bcnt1_i32_b64 s34, s[30:31]
	s_getpc_b64 s[30:31]
	s_add_u32 s30, s30, _ZL8currpos1@rel32@lo+4
	s_addc_u32 s31, s31, _ZL8currpos1@rel32@hi+12
	v_mov_b32_e32 v2, s34
	global_atomic_add v2, v27, v2, s[30:31] glc
.LBB1_7:                                ;   in Loop: Header=BB1_4 Depth=1
	s_or_b64 exec, exec, s[8:9]
	s_waitcnt vmcnt(0)
	v_readfirstlane_b32 s8, v2
	v_add_u32_e32 v1, s8, v1
.LBB1_8:                                ;   in Loop: Header=BB1_4 Depth=1
	s_or_b64 exec, exec, s[4:5]
	ds_bpermute_b32 v1, v11, v1
	s_mov_b64 s[4:5], -1
	s_waitcnt lgkmcnt(0)
	v_cmp_gt_i32_e32 vcc, s10, v1
	s_and_saveexec_b64 s[30:31], vcc
	s_cbranch_execz .LBB1_3
; %bb.9:                                ;   in Loop: Header=BB1_4 Depth=1
	v_ashrrev_i32_e32 v2, 31, v1
	v_lshlrev_b64 v[5:6], 2, v[1:2]
	v_mov_b32_e32 v3, s13
	v_add_co_u32_e32 v2, vcc, s12, v5
	v_addc_co_u32_e32 v3, vcc, v3, v6, vcc
	global_load_dwordx2 v[3:4], v[2:3], off
	s_waitcnt vmcnt(0)
	v_lshlrev_b32_e32 v2, 1, v3
	s_and_saveexec_b64 s[4:5], s[0:1]
	s_cbranch_execz .LBB1_11
; %bb.10:                               ;   in Loop: Header=BB1_4 Depth=1
	v_mov_b32_e32 v7, s19
	v_add_co_u32_e32 v5, vcc, s18, v5
	v_addc_co_u32_e32 v6, vcc, v7, v6, vcc
	global_store_dword v[5:6], v2, off
.LBB1_11:                               ;   in Loop: Header=BB1_4 Depth=1
	s_or_b64 exec, exec, s[4:5]
	v_sub_u32_e32 v34, v4, v3
	v_cmp_lt_i32_sdwa s[8:9], v10, sext(v34) src0_sel:DWORD src1_sel:WORD_0
	s_and_saveexec_b64 s[4:5], s[8:9]
	s_cbranch_execz .LBB1_16
; %bb.12:                               ;   in Loop: Header=BB1_4 Depth=1
	s_mov_b64 s[8:9], 0
	v_mov_b32_e32 v4, v10
.LBB1_13:                               ;   Parent Loop BB1_4 Depth=1
                                        ; =>  This Inner Loop Header: Depth=2
	v_add_u32_e32 v5, v4, v3
	v_ashrrev_i32_e32 v6, 31, v5
	v_lshlrev_b64 v[6:7], 2, v[5:6]
	v_mov_b32_e32 v8, s15
	v_add_co_u32_e32 v6, vcc, s14, v6
	v_addc_co_u32_e32 v7, vcc, v8, v7, vcc
	global_load_dword v7, v[6:7], off
	v_add_u32_e32 v5, v5, v3
	v_ashrrev_i32_e32 v6, 31, v5
	v_lshl_add_u32 v4, v4, 16, v31
	v_lshlrev_b64 v[5:6], 2, v[5:6]
	v_ashrrev_i32_e32 v4, 16, v4
	v_mov_b32_e32 v8, s21
	v_cmp_ge_i32_sdwa s[34:35], v4, sext(v34) src0_sel:DWORD src1_sel:WORD_0
	v_add_co_u32_e32 v5, vcc, s20, v5
	s_or_b64 s[8:9], s[34:35], s[8:9]
	v_addc_co_u32_e32 v6, vcc, v8, v6, vcc
	s_waitcnt vmcnt(0)
	global_store_dword v[5:6], v7, off
	s_andn2_b64 exec, exec, s[8:9]
	s_cbranch_execnz .LBB1_13
; %bb.14:                               ;   in Loop: Header=BB1_4 Depth=1
	s_or_b64 exec, exec, s[8:9]
	s_mov_b64 s[8:9], 0
	v_mov_b32_e32 v4, v10
.LBB1_15:                               ;   Parent Loop BB1_4 Depth=1
                                        ; =>  This Inner Loop Header: Depth=2
	v_add_u32_e32 v5, v4, v3
	v_ashrrev_i32_e32 v6, 31, v5
	v_lshlrev_b64 v[6:7], 2, v[5:6]
	v_mov_b32_e32 v8, s17
	v_add_co_u32_e32 v6, vcc, s16, v6
	v_addc_co_u32_e32 v7, vcc, v8, v7, vcc
	global_load_dword v7, v[6:7], off
	v_add_u32_e32 v5, v5, v3
	v_ashrrev_i32_e32 v6, 31, v5
	v_lshl_add_u32 v4, v4, 16, v31
	v_lshlrev_b64 v[5:6], 2, v[5:6]
	v_ashrrev_i32_e32 v4, 16, v4
	v_mov_b32_e32 v8, s23
	v_cmp_ge_i32_sdwa s[34:35], v4, sext(v34) src0_sel:DWORD src1_sel:WORD_0
	v_add_co_u32_e32 v5, vcc, s22, v5
	s_or_b64 s[8:9], s[34:35], s[8:9]
	v_addc_co_u32_e32 v6, vcc, v8, v6, vcc
	s_waitcnt vmcnt(0)
	global_store_dword v[5:6], v7, off
	s_andn2_b64 exec, exec, s[8:9]
	s_cbranch_execnz .LBB1_15
.LBB1_16:                               ;   in Loop: Header=BB1_4 Depth=1
	s_or_b64 exec, exec, s[4:5]
	v_lshlrev_b32_e32 v3, 16, v34
	v_cmp_lt_i32_e32 vcc, s33, v3
	s_mov_b64 s[34:35], 0
	s_mov_b64 s[8:9], 0
	s_and_saveexec_b64 s[4:5], vcc
	s_xor_b64 s[4:5], exec, s[4:5]
	s_cbranch_execnz .LBB1_20
; %bb.17:                               ;   in Loop: Header=BB1_4 Depth=1
	s_andn2_saveexec_b64 s[4:5], s[4:5]
	s_cbranch_execnz .LBB1_27
.LBB1_18:                               ;   in Loop: Header=BB1_4 Depth=1
	s_or_b64 exec, exec, s[4:5]
	s_and_saveexec_b64 s[4:5], s[8:9]
	s_xor_b64 s[36:37], exec, s[4:5]
	s_cbranch_execnz .LBB1_28
.LBB1_19:                               ;   in Loop: Header=BB1_4 Depth=1
	s_or_b64 exec, exec, s[36:37]
	s_and_saveexec_b64 s[4:5], s[34:35]
	s_xor_b64 s[4:5], exec, s[4:5]
	s_cbranch_execz .LBB1_2
	s_branch .LBB1_105
.LBB1_20:                               ;   in Loop: Header=BB1_4 Depth=1
	v_cmp_eq_u32_e32 vcc, s50, v3
	s_mov_b64 s[36:37], -1
	s_and_saveexec_b64 s[8:9], vcc
	s_cbranch_execz .LBB1_26
; %bb.21:                               ;   in Loop: Header=BB1_4 Depth=1
                                        ; implicit-def: $vgpr4
                                        ; implicit-def: $vgpr3
	s_and_saveexec_b64 s[36:37], s[2:3]
	s_cbranch_execz .LBB1_23
; %bb.22:                               ;   in Loop: Header=BB1_4 Depth=1
	v_add_u32_e32 v3, v2, v10
	v_ashrrev_i32_e32 v4, 31, v3
	v_lshlrev_b64 v[5:6], 2, v[3:4]
	v_mov_b32_e32 v4, s21
	v_add_co_u32_e32 v3, vcc, s20, v5
	v_addc_co_u32_e32 v4, vcc, v4, v6, vcc
	v_mov_b32_e32 v8, s23
	v_add_co_u32_e32 v7, vcc, s22, v5
	v_addc_co_u32_e32 v8, vcc, v8, v6, vcc
	global_load_dword v3, v[3:4], off
	s_nop 0
	global_load_dword v4, v[7:8], off
	v_mov_b32_e32 v7, s25
	v_add_co_u32_e32 v5, vcc, s24, v5
	v_addc_co_u32_e32 v6, vcc, v7, v6, vcc
	global_store_dword v[5:6], v24, off
.LBB1_23:                               ;   in Loop: Header=BB1_4 Depth=1
	s_or_b64 exec, exec, s[36:37]
	s_waitcnt vmcnt(2)
	ds_bpermute_b32 v7, v12, v3
	s_waitcnt vmcnt(1)
	ds_bpermute_b32 v5, v12, v4
	ds_bpermute_b32 v8, v13, v3
	;; [unrolled: 1-line block ×3, first 2 shown]
	s_and_saveexec_b64 s[36:37], s[0:1]
	s_xor_b64 s[36:37], exec, s[36:37]
	s_cbranch_execz .LBB1_25
; %bb.24:                               ;   in Loop: Header=BB1_4 Depth=1
	s_waitcnt lgkmcnt(1)
	v_med3_i32 v9, v3, v7, v8
	v_ashrrev_i32_e32 v3, 31, v2
	v_lshlrev_b64 v[7:8], 2, v[2:3]
	v_mov_b32_e32 v3, s21
	v_add_co_u32_e32 v35, vcc, s20, v7
	v_addc_co_u32_e32 v36, vcc, v3, v8, vcc
	s_waitcnt lgkmcnt(0)
	v_med3_i32 v5, v4, v5, v6
	v_mov_b32_e32 v4, s23
	v_add_co_u32_e32 v3, vcc, s22, v7
	v_addc_co_u32_e32 v4, vcc, v4, v8, vcc
	global_store_dword v[35:36], v9, off offset:12
	global_store_dword v[3:4], v5, off offset:12
.LBB1_25:                               ;   in Loop: Header=BB1_4 Depth=1
	s_or_b64 exec, exec, s[36:37]
	s_xor_b64 s[36:37], exec, -1
.LBB1_26:                               ;   in Loop: Header=BB1_4 Depth=1
	s_or_b64 exec, exec, s[8:9]
	s_and_b64 s[8:9], s[36:37], exec
                                        ; implicit-def: $vgpr3
	s_andn2_saveexec_b64 s[4:5], s[4:5]
	s_cbranch_execz .LBB1_18
.LBB1_27:                               ;   in Loop: Header=BB1_4 Depth=1
	v_cmp_ne_u32_e32 vcc, s51, v3
	s_andn2_b64 s[8:9], s[8:9], exec
	s_and_b64 s[36:37], vcc, exec
	s_mov_b64 s[34:35], exec
	s_or_b64 s[8:9], s[8:9], s[36:37]
	s_or_b64 exec, exec, s[4:5]
	s_and_saveexec_b64 s[4:5], s[8:9]
	s_xor_b64 s[36:37], exec, s[4:5]
	s_cbranch_execz .LBB1_19
.LBB1_28:                               ;   in Loop: Header=BB1_4 Depth=1
	v_cmp_gt_i32_sdwa s[4:5], sext(v34), v32 src0_sel:WORD_0 src1_sel:DWORD
	s_and_saveexec_b64 s[8:9], s[4:5]
	s_xor_b64 s[4:5], exec, s[8:9]
	s_cbranch_execz .LBB1_34
; %bb.29:                               ;   in Loop: Header=BB1_4 Depth=1
	s_and_saveexec_b64 s[8:9], s[0:1]
	s_cbranch_execz .LBB1_33
; %bb.30:                               ;   in Loop: Header=BB1_4 Depth=1
	s_mov_b64 s[40:41], exec
	v_mbcnt_lo_u32_b32 v3, s40, 0
	v_mbcnt_hi_u32_b32 v3, s41, v3
	v_cmp_eq_u32_e32 vcc, 0, v3
                                        ; implicit-def: $vgpr4
	s_and_saveexec_b64 s[38:39], vcc
	s_cbranch_execz .LBB1_32
; %bb.31:                               ;   in Loop: Header=BB1_4 Depth=1
	s_bcnt1_i32_b64 s42, s[40:41]
	s_getpc_b64 s[40:41]
	s_add_u32 s40, s40, _ZL6wlsize@rel32@lo+4
	s_addc_u32 s41, s41, _ZL6wlsize@rel32@hi+12
	v_mov_b32_e32 v4, s42
	global_atomic_add v4, v27, v4, s[40:41] glc
.LBB1_32:                               ;   in Loop: Header=BB1_4 Depth=1
	s_or_b64 exec, exec, s[38:39]
	s_waitcnt vmcnt(0)
	v_readfirstlane_b32 s38, v4
	v_add_u32_e32 v3, s38, v3
	v_ashrrev_i32_e32 v4, 31, v3
	v_lshlrev_b64 v[3:4], 2, v[3:4]
	s_waitcnt lgkmcnt(2)
	v_mov_b32_e32 v5, s27
	v_add_co_u32_e32 v3, vcc, s26, v3
	v_addc_co_u32_e32 v4, vcc, v5, v4, vcc
	global_store_dword v[3:4], v1, off
.LBB1_33:                               ;   in Loop: Header=BB1_4 Depth=1
	s_or_b64 exec, exec, s[8:9]
                                        ; implicit-def: $vgpr34
.LBB1_34:                               ;   in Loop: Header=BB1_4 Depth=1
	s_andn2_saveexec_b64 s[38:39], s[4:5]
	s_cbranch_execz .LBB1_104
; %bb.35:                               ;   in Loop: Header=BB1_4 Depth=1
	v_ashrrev_i32_e32 v3, 31, v2
	v_lshlrev_b64 v[3:4], 2, v[2:3]
	s_waitcnt lgkmcnt(2)
	v_mov_b32_e32 v5, s21
	v_add_co_u32_e32 v35, vcc, s20, v3
	v_addc_co_u32_e32 v36, vcc, v5, v4, vcc
	v_mov_b32_e32 v5, s23
	v_add_co_u32_e32 v37, vcc, s22, v3
	v_addc_co_u32_e32 v38, vcc, v5, v4, vcc
	;; [unrolled: 3-line block ×3, first 2 shown]
	s_branch .LBB1_37
.LBB1_36:                               ;   in Loop: Header=BB1_37 Depth=2
	v_cndmask_b32_e64 v3, 0, 1, s[8:9]
	v_cmp_ne_u32_e32 vcc, 0, v3
	s_cbranch_vccz .LBB1_104
.LBB1_37:                               ;   Parent Loop BB1_4 Depth=1
                                        ; =>  This Loop Header: Depth=2
                                        ;       Child Loop BB1_39 Depth 3
                                        ;       Child Loop BB1_43 Depth 3
	;; [unrolled: 1-line block ×4, first 2 shown]
                                        ;         Child Loop BB1_57 Depth 4
                                        ;       Child Loop BB1_63 Depth 3
                                        ;       Child Loop BB1_68 Depth 3
	;; [unrolled: 1-line block ×3, first 2 shown]
                                        ;         Child Loop BB1_78 Depth 4
                                        ;           Child Loop BB1_83 Depth 5
                                        ;       Child Loop BB1_90 Depth 3
	v_bfe_i32 v41, v34, 0, 16
	v_add_u32_e32 v42, -1, v41
	v_cmp_gt_i32_sdwa s[4:5], sext(v42), v10 src0_sel:WORD_0 src1_sel:DWORD
	s_and_saveexec_b64 s[40:41], s[4:5]
	s_cbranch_execz .LBB1_49
; %bb.38:                               ;   in Loop: Header=BB1_37 Depth=2
	s_mov_b64 s[4:5], 0
	v_mov_b32_e32 v3, v10
.LBB1_39:                               ;   Parent Loop BB1_4 Depth=1
                                        ;     Parent Loop BB1_37 Depth=2
                                        ; =>    This Inner Loop Header: Depth=3
	v_bfe_i32 v4, v3, 0, 16
	v_add_u16_e32 v3, 64, v3
	v_cmp_le_i32_sdwa s[8:9], sext(v42), sext(v3) src0_sel:WORD_0 src1_sel:WORD_0
	v_lshl_add_u32 v4, v4, 2, v14
	s_or_b64 s[4:5], s[8:9], s[4:5]
	ds_write_b32 v4, v28
	s_andn2_b64 exec, exec, s[4:5]
	s_cbranch_execnz .LBB1_39
; %bb.40:                               ;   in Loop: Header=BB1_37 Depth=2
	s_or_b64 exec, exec, s[4:5]
	v_add_u32_sdwa v5, sext(v42), v22 dst_sel:DWORD dst_unused:UNUSED_PAD src0_sel:WORD_0 src1_sel:DWORD
	v_cmp_gt_u32_e64 s[42:43], s52, v5
	v_cmp_lt_u32_e32 vcc, s53, v5
	v_mov_b32_e32 v3, v10
	s_and_saveexec_b64 s[44:45], vcc
	s_cbranch_execz .LBB1_46
; %bb.41:                               ;   in Loop: Header=BB1_37 Depth=2
	v_lshrrev_b32_e32 v4, 6, v5
	v_lshlrev_b16_e32 v3, 6, v4
	v_cmp_gt_u16_e32 vcc, s54, v4
	v_add_u16_e32 v3, v23, v3
	v_cmp_gt_u32_e64 s[8:9], s11, v5
	v_cmp_ge_i16_e64 s[4:5], v3, v23
	s_and_b64 s[8:9], vcc, s[8:9]
	s_and_b64 s[46:47], s[8:9], s[4:5]
	s_mov_b64 s[8:9], -1
	v_mov_b32_e32 v3, v10
	s_and_saveexec_b64 s[4:5], s[46:47]
	s_cbranch_execz .LBB1_45
; %bb.42:                               ;   in Loop: Header=BB1_37 Depth=2
	v_add_u32_e32 v4, 1, v4
	v_and_b32_e32 v5, 0x7fffffe, v4
	s_mov_b64 s[8:9], 0
	v_mov_b32_e32 v3, v5
	s_waitcnt lgkmcnt(1)
	v_mov_b32_e32 v6, v25
.LBB1_43:                               ;   Parent Loop BB1_4 Depth=1
                                        ;     Parent Loop BB1_37 Depth=2
                                        ; =>    This Inner Loop Header: Depth=3
	v_add_u32_e32 v3, -2, v3
	v_ashrrev_i32_e32 v8, 16, v6
	v_bfe_i32 v9, v6, 0, 16
	v_cmp_eq_u32_e32 vcc, 0, v3
	v_pk_add_u16 v7, v6, 1 op_sel_hi:[1,0]
	v_pk_add_u16 v6, v6, s55 op_sel_hi:[1,0]
	v_lshl_add_u32 v9, v9, 1, v17
	v_lshl_add_u32 v8, v8, 1, v17
	s_or_b64 s[8:9], vcc, s[8:9]
	ds_write_b16 v9, v7
	ds_write_b16_d16_hi v8, v7
	s_andn2_b64 exec, exec, s[8:9]
	s_cbranch_execnz .LBB1_43
; %bb.44:                               ;   in Loop: Header=BB1_37 Depth=2
	s_or_b64 exec, exec, s[8:9]
	v_lshlrev_b16_e32 v3, 6, v5
	v_cmp_ne_u32_e32 vcc, v4, v5
	v_or_b32_e32 v3, v3, v10
	s_orn2_b64 s[8:9], vcc, exec
.LBB1_45:                               ;   in Loop: Header=BB1_37 Depth=2
	s_or_b64 exec, exec, s[4:5]
	s_andn2_b64 s[4:5], s[42:43], exec
	s_and_b64 s[8:9], s[8:9], exec
	s_or_b64 s[42:43], s[4:5], s[8:9]
.LBB1_46:                               ;   in Loop: Header=BB1_37 Depth=2
	s_or_b64 exec, exec, s[44:45]
	s_and_b64 exec, exec, s[42:43]
	s_cbranch_execz .LBB1_49
; %bb.47:                               ;   in Loop: Header=BB1_37 Depth=2
	s_mov_b64 s[4:5], 0
.LBB1_48:                               ;   Parent Loop BB1_4 Depth=1
                                        ;     Parent Loop BB1_37 Depth=2
                                        ; =>    This Inner Loop Header: Depth=3
	v_add_u16_e32 v4, 1, v3
	v_bfe_i32 v5, v3, 0, 16
	v_add_u16_e32 v3, 64, v3
	v_cmp_le_i32_sdwa s[8:9], sext(v42), sext(v3) src0_sel:WORD_0 src1_sel:WORD_0
	v_lshl_add_u32 v5, v5, 1, v17
	s_or_b64 s[4:5], s[8:9], s[4:5]
	ds_write_b16 v5, v4
	s_andn2_b64 exec, exec, s[4:5]
	s_cbranch_execnz .LBB1_48
.LBB1_49:                               ;   in Loop: Header=BB1_37 Depth=2
	s_or_b64 exec, exec, s[40:41]
	v_cmp_lt_i16_e32 vcc, 1, v34
	s_and_saveexec_b64 s[4:5], vcc
	s_cbranch_execz .LBB1_61
; %bb.50:                               ;   in Loop: Header=BB1_37 Depth=2
	v_mov_b32_e32 v4, 0
	s_mov_b64 s[8:9], 0
	s_mov_b32 s46, 0
	v_mov_b32_e32 v3, v42
	s_branch .LBB1_52
.LBB1_51:                               ;   in Loop: Header=BB1_52 Depth=3
	s_or_b64 exec, exec, s[40:41]
	s_add_i32 s46, s46, 1
	s_sext_i32_i16 s40, s46
	v_cmp_ge_i32_e32 vcc, s40, v42
	s_or_b64 s[8:9], vcc, s[8:9]
	s_andn2_b64 exec, exec, s[8:9]
	s_cbranch_execz .LBB1_61
.LBB1_52:                               ;   Parent Loop BB1_4 Depth=1
                                        ;     Parent Loop BB1_37 Depth=2
                                        ; =>    This Loop Header: Depth=3
                                        ;         Child Loop BB1_57 Depth 4
	s_and_saveexec_b64 s[40:41], s[0:1]
; %bb.53:                               ;   in Loop: Header=BB1_52 Depth=3
	ds_write_b32 v18, v28
; %bb.54:                               ;   in Loop: Header=BB1_52 Depth=3
	s_or_b64 exec, exec, s[40:41]
	v_cmp_gt_i16_e32 vcc, v3, v10
	s_and_saveexec_b64 s[40:41], vcc
	s_cbranch_execz .LBB1_59
; %bb.55:                               ;   in Loop: Header=BB1_52 Depth=3
	s_waitcnt lgkmcnt(0)
	v_bfe_i32 v5, v4, 0, 16
	s_waitcnt lgkmcnt(0)
	v_ashrrev_i32_e32 v6, 31, v5
	v_lshlrev_b64 v[6:7], 2, v[5:6]
	s_mov_b64 s[42:43], 0
	v_add_co_u32_e32 v8, vcc, v35, v6
	v_addc_co_u32_e32 v9, vcc, v36, v7, vcc
	v_add_co_u32_e32 v6, vcc, v37, v6
	v_addc_co_u32_e32 v7, vcc, v38, v7, vcc
	global_load_dword v5, v[8:9], off
	v_mov_b32_e32 v8, v10
	global_load_dword v6, v[6:7], off
	v_mov_b32_e32 v7, v10
	s_branch .LBB1_57
.LBB1_56:                               ;   in Loop: Header=BB1_57 Depth=4
	s_or_b64 exec, exec, s[44:45]
	v_lshl_add_u32 v7, v9, 9, v7
	ds_min_i32 v18, v7
	v_add_u16_e32 v8, 64, v8
	v_cmp_ge_i16_e32 vcc, v8, v3
	s_or_b64 s[42:43], vcc, s[42:43]
	v_bfe_i32 v7, v8, 0, 16
	s_andn2_b64 exec, exec, s[42:43]
	s_cbranch_execz .LBB1_59
.LBB1_57:                               ;   Parent Loop BB1_4 Depth=1
                                        ;     Parent Loop BB1_37 Depth=2
                                        ;       Parent Loop BB1_52 Depth=3
                                        ; =>      This Inner Loop Header: Depth=4
	v_bfe_i32 v8, v8, 0, 16
	v_lshl_add_u32 v9, v8, 1, v17
	ds_read_u16 v44, v9
	v_lshl_add_u32 v43, v8, 2, v14
	ds_read_b32 v9, v43
	s_waitcnt lgkmcnt(1)
	v_bfe_i32 v44, v44, 0, 16
	v_ashrrev_i32_e32 v45, 31, v44
	v_lshlrev_b64 v[44:45], 2, v[44:45]
	v_add_co_u32_e32 v46, vcc, v35, v44
	v_addc_co_u32_e32 v47, vcc, v36, v45, vcc
	v_add_co_u32_e32 v44, vcc, v37, v44
	v_addc_co_u32_e32 v45, vcc, v38, v45, vcc
	global_load_dword v46, v[46:47], off
	s_nop 0
	global_load_dword v44, v[44:45], off
	s_waitcnt vmcnt(1)
	v_sub_u32_e32 v45, v5, v46
	v_sub_u32_e32 v46, 0, v45
	s_waitcnt vmcnt(0)
	v_sub_u32_e32 v44, v6, v44
	v_sub_u32_e32 v47, 0, v44
	v_max_i32_e32 v45, v45, v46
	v_max_i32_e32 v44, v44, v47
	v_add_u32_e32 v44, v44, v45
	s_waitcnt lgkmcnt(0)
	v_cmp_gt_i32_e32 vcc, v9, v44
	s_and_saveexec_b64 s[44:45], vcc
	s_cbranch_execz .LBB1_56
; %bb.58:                               ;   in Loop: Header=BB1_57 Depth=4
	v_lshl_add_u32 v9, v8, 1, v19
	ds_write_b32 v43, v44
	ds_write_b16 v9, v4
	v_mov_b32_e32 v9, v44
	s_branch .LBB1_56
.LBB1_59:                               ;   in Loop: Header=BB1_52 Depth=3
	s_or_b64 exec, exec, s[40:41]
	s_waitcnt lgkmcnt(0)
	ds_read_b32 v4, v18
	v_add_u16_e32 v3, -1, v3
	s_waitcnt lgkmcnt(0)
	v_ashrrev_i32_e32 v5, 31, v4
	v_lshrrev_b32_e32 v5, 23, v5
	v_add_u32_e32 v5, v4, v5
	v_and_b32_e32 v5, 0xfe00, v5
	v_sub_u32_e32 v4, v4, v5
	v_bfe_i32 v6, v4, 0, 16
	v_lshl_add_u32 v5, v6, 1, v17
	ds_read_u16 v4, v5
	s_and_saveexec_b64 s[40:41], s[0:1]
	s_cbranch_execz .LBB1_51
; %bb.60:                               ;   in Loop: Header=BB1_52 Depth=3
	v_bfe_i32 v44, v3, 0, 16
	v_lshl_add_u32 v9, v6, 1, v19
	v_lshl_add_u32 v45, v44, 2, v14
	v_lshlrev_b32_e32 v44, 1, v44
	ds_read_u16 v43, v9
	v_add_u32_e32 v46, v19, v44
	v_add_u32_e32 v44, v17, v44
	s_sext_i32_i16 s42, s46
	ds_read_b32 v45, v45
	ds_read_u16 v46, v46
	ds_read_u16 v44, v44
	s_ashr_i32 s43, s42, 31
	s_lshl_b64 s[42:43], s[42:43], 2
	v_mov_b32_e32 v8, s43
	v_add_co_u32_e32 v7, vcc, s42, v39
	v_addc_co_u32_e32 v8, vcc, v40, v8, vcc
	s_waitcnt lgkmcnt(3)
	v_perm_b32 v43, v4, v43, s7
	v_lshl_add_u32 v6, v6, 2, v14
	global_store_dword v[7:8], v43, off
	s_waitcnt lgkmcnt(2)
	ds_write_b32 v6, v45
	s_waitcnt lgkmcnt(2)
	ds_write_b16 v9, v46
	s_waitcnt lgkmcnt(2)
	ds_write_b16 v5, v44
	s_branch .LBB1_51
.LBB1_61:                               ;   in Loop: Header=BB1_37 Depth=2
	s_or_b64 exec, exec, s[4:5]
	v_cmp_gt_i16_e32 vcc, v34, v10
	s_and_saveexec_b64 s[8:9], vcc
	s_cbranch_execz .LBB1_65
; %bb.62:                               ;   in Loop: Header=BB1_37 Depth=2
	v_and_b32_e32 v41, 0xffff, v34
	s_mov_b64 s[40:41], 0
	v_mov_b32_e32 v3, v26
	s_waitcnt lgkmcnt(0)
	v_mov_b32_e32 v4, v10
.LBB1_63:                               ;   Parent Loop BB1_4 Depth=1
                                        ;     Parent Loop BB1_37 Depth=2
                                        ; =>    This Inner Loop Header: Depth=3
	v_add_u32_e32 v4, 64, v4
	v_cmp_ge_u32_e64 s[4:5], v4, v41
	ds_write_b32 v3, v27
	s_or_b64 s[40:41], s[4:5], s[40:41]
	v_add_u32_e32 v3, 0x100, v3
	s_andn2_b64 exec, exec, s[40:41]
	s_cbranch_execnz .LBB1_63
; %bb.64:                               ;   in Loop: Header=BB1_37 Depth=2
	s_or_b64 exec, exec, s[40:41]
	v_add_u32_e32 v42, -1, v41
.LBB1_65:                               ;   in Loop: Header=BB1_37 Depth=2
	s_or_b64 exec, exec, s[8:9]
	v_cmp_gt_i32_e64 s[4:5], v42, v10
	s_and_saveexec_b64 s[8:9], s[4:5]
	s_cbranch_execz .LBB1_72
; %bb.66:                               ;   in Loop: Header=BB1_37 Depth=2
	s_mov_b64 s[40:41], 0
	v_mov_b32_e32 v43, v10
	s_branch .LBB1_68
.LBB1_67:                               ;   in Loop: Header=BB1_68 Depth=3
	s_or_b64 exec, exec, s[4:5]
	v_add_u16_e32 v43, 64, v43
	v_cmp_le_i32_sdwa s[4:5], v42, sext(v43) src0_sel:DWORD src1_sel:WORD_0
	s_or_b64 s[40:41], s[4:5], s[40:41]
	s_andn2_b64 exec, exec, s[40:41]
	s_cbranch_execz .LBB1_72
.LBB1_68:                               ;   Parent Loop BB1_4 Depth=1
                                        ;     Parent Loop BB1_37 Depth=2
                                        ; =>    This Inner Loop Header: Depth=3
	v_bfe_i32 v44, v43, 0, 16
	v_ashrrev_i32_e32 v45, 31, v44
	s_waitcnt lgkmcnt(0)
	v_lshlrev_b64 v[3:4], 2, v[44:45]
	v_lshl_add_u32 v44, v44, 2, v14
	v_add_co_u32_e64 v3, s[4:5], v39, v3
	v_addc_co_u32_e64 v4, s[4:5], v40, v4, s[4:5]
	global_load_dword v3, v[3:4], off
	s_waitcnt vmcnt(0)
	v_bfe_i32 v5, v3, 0, 16
	v_lshrrev_b32_e32 v4, 16, v3
	v_ashrrev_i32_e32 v6, 31, v5
	v_bfe_i32 v3, v4, 0, 16
	v_lshlrev_b64 v[6:7], 2, v[5:6]
	v_ashrrev_i32_e32 v4, 31, v3
	v_lshlrev_b64 v[8:9], 2, v[3:4]
	v_add_co_u32_e64 v45, s[4:5], v35, v6
	v_addc_co_u32_e64 v46, s[4:5], v36, v7, s[4:5]
	v_add_co_u32_e64 v47, s[4:5], v35, v8
	v_addc_co_u32_e64 v48, s[4:5], v36, v9, s[4:5]
	global_load_dword v4, v[47:48], off
	s_nop 0
	global_load_dword v45, v[45:46], off
	ds_write_b32 v44, v29
	s_waitcnt vmcnt(0)
	v_cmp_ne_u32_e64 s[42:43], v4, v45
	v_cmp_eq_u32_e64 s[4:5], v4, v45
	s_and_saveexec_b64 s[44:45], s[4:5]
	s_cbranch_execz .LBB1_70
; %bb.69:                               ;   in Loop: Header=BB1_68 Depth=3
	v_add_co_u32_e64 v8, s[4:5], v37, v8
	v_addc_co_u32_e64 v9, s[4:5], v38, v9, s[4:5]
	v_add_co_u32_e64 v6, s[4:5], v37, v6
	v_addc_co_u32_e64 v7, s[4:5], v38, v7, s[4:5]
	global_load_dword v4, v[8:9], off
	s_nop 0
	global_load_dword v6, v[6:7], off
	s_andn2_b64 s[42:43], s[42:43], exec
	s_waitcnt vmcnt(0)
	v_cmp_ne_u32_e64 s[4:5], v4, v6
	s_and_b64 s[4:5], s[4:5], exec
	s_or_b64 s[42:43], s[42:43], s[4:5]
.LBB1_70:                               ;   in Loop: Header=BB1_68 Depth=3
	s_or_b64 exec, exec, s[44:45]
	s_and_saveexec_b64 s[4:5], s[42:43]
	s_cbranch_execz .LBB1_67
; %bb.71:                               ;   in Loop: Header=BB1_68 Depth=3
	v_lshl_add_u32 v4, v5, 2, v20
	ds_add_rtn_u32 v4, v4, v30
	v_lshlrev_b32_e32 v5, 4, v5
	s_waitcnt lgkmcnt(0)
	v_lshlrev_b32_e32 v4, 1, v4
	v_add3_u32 v4, v21, v5, v4
	ds_write_b16 v4, v43
	v_lshl_add_u32 v4, v3, 2, v20
	ds_add_rtn_u32 v4, v4, v30
	v_lshlrev_b32_e32 v3, 4, v3
	s_waitcnt lgkmcnt(0)
	v_lshlrev_b32_e32 v4, 1, v4
	v_add3_u32 v3, v21, v3, v4
	ds_write_b16 v3, v43
	s_branch .LBB1_67
.LBB1_72:                               ;   in Loop: Header=BB1_37 Depth=2
	s_or_b64 exec, exec, s[8:9]
	s_and_saveexec_b64 s[4:5], vcc
	s_cbranch_execz .LBB1_87
; %bb.73:                               ;   in Loop: Header=BB1_37 Depth=2
	s_mov_b64 s[8:9], 0
	v_mov_b32_e32 v3, v10
	s_branch .LBB1_75
.LBB1_74:                               ;   in Loop: Header=BB1_75 Depth=3
	s_or_b64 exec, exec, s[40:41]
	v_add_u16_e32 v3, 64, v3
	v_cmp_ge_i16_e32 vcc, v3, v34
	s_or_b64 s[8:9], vcc, s[8:9]
	s_andn2_b64 exec, exec, s[8:9]
	s_cbranch_execz .LBB1_87
.LBB1_75:                               ;   Parent Loop BB1_4 Depth=1
                                        ;     Parent Loop BB1_37 Depth=2
                                        ; =>    This Loop Header: Depth=3
                                        ;         Child Loop BB1_78 Depth 4
                                        ;           Child Loop BB1_83 Depth 5
	v_bfe_i32 v3, v3, 0, 16
	s_waitcnt lgkmcnt(0)
	v_lshl_add_u32 v4, v3, 2, v20
	ds_read_b32 v8, v4
	s_waitcnt lgkmcnt(0)
	v_cmp_lt_i32_e32 vcc, 1, v8
	s_and_saveexec_b64 s[40:41], vcc
	s_cbranch_execz .LBB1_74
; %bb.76:                               ;   in Loop: Header=BB1_75 Depth=3
	v_ashrrev_i32_e32 v4, 31, v3
	v_lshlrev_b64 v[4:5], 2, v[3:4]
	v_lshl_add_u32 v43, v3, 4, v21
	v_add_co_u32_e32 v6, vcc, v35, v4
	s_waitcnt vmcnt(0)
	v_addc_co_u32_e32 v7, vcc, v36, v5, vcc
	v_add_co_u32_e32 v4, vcc, v37, v4
	v_addc_co_u32_e32 v5, vcc, v38, v5, vcc
	global_load_dword v9, v[6:7], off
	global_load_dword v42, v[4:5], off
	v_add_u32_e32 v44, -1, v8
	s_mov_b32 s56, 0
	s_mov_b64 s[42:43], 0
	s_branch .LBB1_78
.LBB1_77:                               ;   in Loop: Header=BB1_78 Depth=4
	s_or_b64 exec, exec, s[44:45]
	v_cmp_ge_i32_e32 vcc, s57, v44
	s_or_b64 s[42:43], vcc, s[42:43]
	s_andn2_b64 exec, exec, s[42:43]
	s_cbranch_execz .LBB1_74
.LBB1_78:                               ;   Parent Loop BB1_4 Depth=1
                                        ;     Parent Loop BB1_37 Depth=2
                                        ;       Parent Loop BB1_75 Depth=3
                                        ; =>      This Loop Header: Depth=4
                                        ;           Child Loop BB1_83 Depth 5
	s_sext_i32_i8 s44, s56
	v_lshl_add_u32 v4, s44, 1, v43
	ds_read_u16 v4, v4
	s_waitcnt lgkmcnt(0)
	v_bfe_i32 v4, v4, 0, 16
	v_ashrrev_i32_e32 v5, 31, v4
	v_lshlrev_b64 v[5:6], 2, v[4:5]
	v_add_co_u32_e32 v5, vcc, v39, v5
	v_addc_co_u32_e32 v6, vcc, v40, v6, vcc
	global_load_ushort v7, v[5:6], off
	s_waitcnt vmcnt(0)
	v_cmp_eq_u16_e32 vcc, v3, v7
	s_and_saveexec_b64 s[44:45], vcc
	s_cbranch_execz .LBB1_80
; %bb.79:                               ;   in Loop: Header=BB1_78 Depth=4
	global_load_ushort v7, v[5:6], off offset:2
.LBB1_80:                               ;   in Loop: Header=BB1_78 Depth=4
	s_or_b64 exec, exec, s[44:45]
	s_add_i32 s56, s56, 1
	s_sext_i32_i8 s57, s56
	v_cmp_lt_i32_e32 vcc, s57, v8
	s_and_saveexec_b64 s[44:45], vcc
	s_cbranch_execz .LBB1_77
; %bb.81:                               ;   in Loop: Header=BB1_78 Depth=4
	s_waitcnt vmcnt(0)
	v_bfe_i32 v5, v7, 0, 16
	v_ashrrev_i32_e32 v6, 31, v5
	v_lshlrev_b64 v[5:6], 2, v[5:6]
	s_mov_b64 s[46:47], 0
	v_add_co_u32_e32 v45, vcc, v35, v5
	v_addc_co_u32_e32 v46, vcc, v36, v6, vcc
	v_add_co_u32_e32 v5, vcc, v37, v5
	v_addc_co_u32_e32 v6, vcc, v38, v6, vcc
	global_load_dword v7, v[45:46], off
	v_lshl_add_u32 v45, v4, 2, v14
	global_load_dword v5, v[5:6], off
	s_mov_b32 s58, s56
	s_waitcnt vmcnt(1)
	v_min_i32_e32 v46, v9, v7
	v_max_i32_e32 v47, v9, v7
	s_waitcnt vmcnt(0)
	v_min_i32_e32 v48, v42, v5
	v_max_i32_e32 v49, v42, v5
	s_branch .LBB1_83
.LBB1_82:                               ;   in Loop: Header=BB1_83 Depth=5
	s_or_b64 exec, exec, s[48:49]
	s_add_i32 s58, s58, 1
	s_sext_i32_i8 s48, s58
	v_cmp_ge_i32_e32 vcc, s48, v8
	s_or_b64 s[46:47], vcc, s[46:47]
	s_andn2_b64 exec, exec, s[46:47]
	s_cbranch_execz .LBB1_77
.LBB1_83:                               ;   Parent Loop BB1_4 Depth=1
                                        ;     Parent Loop BB1_37 Depth=2
                                        ;       Parent Loop BB1_75 Depth=3
                                        ;         Parent Loop BB1_78 Depth=4
                                        ; =>        This Inner Loop Header: Depth=5
	s_sext_i32_i8 s48, s58
	v_lshl_add_u32 v5, s48, 1, v43
	ds_read_u16 v5, v5
	s_waitcnt lgkmcnt(0)
	v_bfe_i32 v5, v5, 0, 16
	v_ashrrev_i32_e32 v6, 31, v5
	v_lshlrev_b64 v[6:7], 2, v[5:6]
	v_add_co_u32_e32 v6, vcc, v39, v6
	v_addc_co_u32_e32 v7, vcc, v40, v7, vcc
	global_load_ushort v50, v[6:7], off
	s_waitcnt vmcnt(0)
	v_cmp_eq_u16_e32 vcc, v3, v50
	s_and_saveexec_b64 s[48:49], vcc
	s_cbranch_execz .LBB1_85
; %bb.84:                               ;   in Loop: Header=BB1_83 Depth=5
	global_load_ushort v50, v[6:7], off offset:2
.LBB1_85:                               ;   in Loop: Header=BB1_83 Depth=5
	s_or_b64 exec, exec, s[48:49]
	s_waitcnt vmcnt(0)
	v_bfe_i32 v6, v50, 0, 16
	v_ashrrev_i32_e32 v7, 31, v6
	v_lshlrev_b64 v[6:7], 2, v[6:7]
	v_add_co_u32_e32 v50, vcc, v35, v6
	v_addc_co_u32_e32 v51, vcc, v36, v7, vcc
	v_add_co_u32_e32 v6, vcc, v37, v6
	v_addc_co_u32_e32 v7, vcc, v38, v7, vcc
	global_load_dword v50, v[50:51], off
	s_nop 0
	global_load_dword v6, v[6:7], off
	s_waitcnt vmcnt(1)
	v_min_i32_e32 v7, v47, v50
	v_max_i32_e32 v7, v46, v7
	s_waitcnt vmcnt(0)
	v_min_i32_e32 v6, v49, v6
	v_max_i32_e32 v6, v48, v6
	v_sub_u32_e32 v7, v7, v9
	v_sub_u32_e32 v6, v6, v42
	;; [unrolled: 1-line block ×4, first 2 shown]
	v_max_i32_e32 v7, v7, v50
	v_max_i32_e32 v6, v6, v51
	v_add_u32_e32 v6, v6, v7
	v_cmp_ne_u32_e32 vcc, 0, v6
	s_and_saveexec_b64 s[48:49], vcc
	s_cbranch_execz .LBB1_82
; %bb.86:                               ;   in Loop: Header=BB1_83 Depth=5
	v_lshlrev_b32_e32 v6, 9, v6
	v_lshl_add_u32 v7, v5, 2, v14
	v_add_u32_e32 v5, v6, v5
	v_add_u32_e32 v6, v6, v4
	ds_max_i32 v45, v5
	ds_max_i32 v7, v6
	s_branch .LBB1_82
.LBB1_87:                               ;   in Loop: Header=BB1_37 Depth=2
	s_or_b64 exec, exec, s[4:5]
	s_waitcnt lgkmcnt(0)
	v_add_u32_e32 v6, -2, v41
	s_mov_b64 s[4:5], 0
	s_waitcnt vmcnt(0)
	v_mov_b32_e32 v7, v34
	v_mov_b32_e32 v3, v10
                                        ; implicit-def: $vgpr4
                                        ; implicit-def: $vgpr5
	s_branch .LBB1_90
.LBB1_88:                               ;   in Loop: Header=BB1_90 Depth=3
	s_or_b64 exec, exec, s[40:41]
	s_bcnt1_i32_b64 s4, vcc
	v_add_u16_e32 v7, s4, v34
	v_add_u16_e32 v3, 64, v3
	s_mov_b64 s[4:5], 0
.LBB1_89:                               ;   in Loop: Header=BB1_90 Depth=3
	s_and_b64 vcc, exec, s[4:5]
	s_andn2_b64 s[4:5], s[8:9], exec
	s_and_b64 s[40:41], s[42:43], exec
	s_or_b64 s[4:5], s[4:5], s[40:41]
	s_cbranch_vccnz .LBB1_36
.LBB1_90:                               ;   Parent Loop BB1_4 Depth=1
                                        ;     Parent Loop BB1_37 Depth=2
                                        ; =>    This Inner Loop Header: Depth=3
	v_bfe_i32 v3, v3, 0, 16
	v_mov_b32_e32 v34, v7
	s_mov_b64 s[8:9], s[4:5]
	v_cmp_gt_i32_e32 vcc, v6, v3
	s_cbranch_vccz .LBB1_103
; %bb.91:                               ;   in Loop: Header=BB1_90 Depth=3
	s_mov_b64 s[4:5], 0
	s_mov_b64 s[42:43], s[8:9]
	s_and_saveexec_b64 s[40:41], vcc
	s_cbranch_execz .LBB1_101
; %bb.92:                               ;   in Loop: Header=BB1_90 Depth=3
	v_lshl_add_u32 v7, v3, 2, v14
	ds_read_b32 v7, v7
	s_mov_b64 s[44:45], 0
	s_mov_b64 s[46:47], s[8:9]
	s_waitcnt lgkmcnt(0)
	v_cmp_lt_i32_e32 vcc, 0, v7
	v_and_b32_e32 v7, 0x1ff, v7
	v_cmp_gt_i32_e64 s[4:5], v7, v3
	s_and_b64 s[4:5], vcc, s[4:5]
	s_and_saveexec_b64 s[42:43], s[4:5]
	s_cbranch_execz .LBB1_100
; %bb.93:                               ;   in Loop: Header=BB1_90 Depth=3
	v_lshl_add_u32 v8, v7, 2, v14
	ds_read_b32 v8, v8
	s_mov_b64 s[4:5], 0
	s_mov_b64 s[46:47], s[8:9]
	s_waitcnt lgkmcnt(0)
	v_ashrrev_i32_e32 v9, 31, v8
	v_lshrrev_b32_e32 v9, 23, v9
	v_add_u32_e32 v9, v8, v9
	v_and_b32_e32 v9, 0xfffffe00, v9
	v_sub_u32_e32 v8, v8, v9
	v_cmp_eq_u32_e32 vcc, v8, v3
	s_and_saveexec_b64 s[44:45], vcc
	s_cbranch_execz .LBB1_99
; %bb.94:                               ;   in Loop: Header=BB1_90 Depth=3
	v_ashrrev_i32_e32 v4, 31, v3
	v_lshlrev_b64 v[4:5], 2, v[3:4]
	v_add_co_u32_e32 v4, vcc, v39, v4
	v_addc_co_u32_e32 v5, vcc, v40, v5, vcc
	global_load_dword v8, v[4:5], off
	v_lshlrev_b32_e32 v4, 2, v7
	v_add_co_u32_e32 v4, vcc, v39, v4
	v_addc_co_u32_e32 v5, vcc, 0, v40, vcc
	global_load_ushort v9, v[4:5], off
	s_waitcnt vmcnt(1)
	v_bfe_i32 v7, v8, 0, 16
	v_lshrrev_b32_e32 v42, 16, v8
	v_ashrrev_i32_e32 v8, 31, v7
	v_lshlrev_b64 v[7:8], 2, v[7:8]
	v_bfe_i32 v43, v42, 0, 16
	v_add_co_u32_e32 v46, vcc, v35, v7
	s_waitcnt vmcnt(0)
	v_bfe_i32 v41, v9, 0, 16
	v_ashrrev_i32_e32 v42, 31, v41
	v_addc_co_u32_e32 v47, vcc, v36, v8, vcc
	v_lshlrev_b64 v[41:42], 2, v[41:42]
	v_add_co_u32_e32 v48, vcc, v37, v7
	v_addc_co_u32_e32 v49, vcc, v38, v8, vcc
	v_add_co_u32_e32 v50, vcc, v35, v41
	v_ashrrev_i32_e32 v44, 31, v43
	v_addc_co_u32_e32 v51, vcc, v36, v42, vcc
	v_lshlrev_b64 v[44:45], 2, v[43:44]
	v_add_co_u32_e32 v52, vcc, v37, v41
	v_addc_co_u32_e32 v53, vcc, v38, v42, vcc
	global_load_dword v7, v[46:47], off
	global_load_dword v8, v[48:49], off
	v_add_co_u32_e32 v46, vcc, v35, v44
	global_load_dword v42, v[50:51], off
	global_load_dword v43, v[52:53], off
	v_addc_co_u32_e32 v47, vcc, v36, v45, vcc
	v_add_co_u32_e32 v44, vcc, v37, v44
	v_addc_co_u32_e32 v45, vcc, v38, v45, vcc
	global_load_dword v9, v[46:47], off
	global_load_dword v41, v[44:45], off
	s_waitcnt vmcnt(3)
	v_cmp_eq_u32_e32 vcc, v42, v7
	s_waitcnt vmcnt(2)
	v_cmp_eq_u32_e64 s[4:5], v43, v8
	s_and_b64 s[46:47], vcc, s[4:5]
	s_xor_b64 s[4:5], s[46:47], -1
	s_and_saveexec_b64 s[48:49], s[4:5]
	s_cbranch_execz .LBB1_96
; %bb.95:                               ;   in Loop: Header=BB1_90 Depth=3
	s_waitcnt vmcnt(1)
	v_cmp_eq_u32_e32 vcc, v42, v9
	s_waitcnt vmcnt(0)
	v_cmp_eq_u32_e64 s[4:5], v43, v41
	s_and_b64 s[4:5], vcc, s[4:5]
	s_andn2_b64 s[46:47], s[46:47], exec
	s_and_b64 s[4:5], s[4:5], exec
	s_or_b64 s[46:47], s[46:47], s[4:5]
.LBB1_96:                               ;   in Loop: Header=BB1_90 Depth=3
	s_or_b64 exec, exec, s[48:49]
	s_and_saveexec_b64 s[4:5], s[46:47]
	s_cbranch_execz .LBB1_98
; %bb.97:                               ;   in Loop: Header=BB1_90 Depth=3
	global_load_ushort v4, v[4:5], off offset:2
	s_waitcnt vmcnt(0)
	v_bfe_i32 v4, v4, 0, 16
	v_ashrrev_i32_e32 v5, 31, v4
	v_lshlrev_b64 v[4:5], 2, v[4:5]
	v_add_co_u32_e32 v42, vcc, v35, v4
	v_addc_co_u32_e32 v43, vcc, v36, v5, vcc
	v_add_co_u32_e32 v4, vcc, v37, v4
	v_addc_co_u32_e32 v5, vcc, v38, v5, vcc
	global_load_dword v42, v[42:43], off
	s_nop 0
	global_load_dword v43, v[4:5], off
.LBB1_98:                               ;   in Loop: Header=BB1_90 Depth=3
	s_or_b64 exec, exec, s[4:5]
	s_mov_b64 s[4:5], exec
	s_waitcnt vmcnt(1)
	v_med3_i32 v4, v7, v9, v42
	s_waitcnt vmcnt(0)
	v_med3_i32 v5, v8, v41, v43
	s_or_b64 s[46:47], s[8:9], exec
.LBB1_99:                               ;   in Loop: Header=BB1_90 Depth=3
	s_or_b64 exec, exec, s[44:45]
	s_andn2_b64 s[44:45], s[8:9], exec
	s_and_b64 s[46:47], s[46:47], exec
	s_or_b64 s[46:47], s[44:45], s[46:47]
	s_and_b64 s[44:45], s[4:5], exec
.LBB1_100:                              ;   in Loop: Header=BB1_90 Depth=3
	s_or_b64 exec, exec, s[42:43]
	s_and_b64 s[4:5], s[44:45], exec
	s_andn2_b64 s[42:43], s[8:9], exec
	s_and_b64 s[44:45], s[46:47], exec
	s_or_b64 s[42:43], s[42:43], s[44:45]
.LBB1_101:                              ;   in Loop: Header=BB1_90 Depth=3
	s_or_b64 exec, exec, s[40:41]
	v_cndmask_b32_e64 v7, 0, 1, s[4:5]
	v_cmp_ne_u32_e32 vcc, 0, v7
	s_and_saveexec_b64 s[40:41], s[4:5]
	s_cbranch_execz .LBB1_88
; %bb.102:                              ;   in Loop: Header=BB1_90 Depth=3
	v_and_b32_e32 v8, vcc_lo, v16
	v_and_b32_e32 v7, vcc_hi, v15
	v_bcnt_u32_b32 v8, v8, 0
	v_bcnt_u32_b32 v7, v7, v8
	v_bfe_i32 v8, v34, 0, 16
	v_ashrrev_i32_e32 v9, 31, v8
	v_add_co_u32_e64 v7, s[4:5], v7, v8
	v_addc_co_u32_e64 v8, s[4:5], 0, v9, s[4:5]
	v_lshlrev_b64 v[7:8], 2, v[7:8]
	v_add_co_u32_e64 v41, s[4:5], v35, v7
	v_addc_co_u32_e64 v42, s[4:5], v36, v8, s[4:5]
	v_add_co_u32_e64 v7, s[4:5], v37, v7
	v_addc_co_u32_e64 v8, s[4:5], v38, v8, s[4:5]
	global_store_dword v[41:42], v4, off
	global_store_dword v[7:8], v5, off
	s_branch .LBB1_88
.LBB1_103:                              ;   in Loop: Header=BB1_90 Depth=3
	s_mov_b64 s[4:5], -1
                                        ; implicit-def: $sgpr42_sgpr43
                                        ; implicit-def: $vgpr3
                                        ; implicit-def: $vgpr5
                                        ; implicit-def: $vgpr4
                                        ; implicit-def: $vgpr7
	s_branch .LBB1_89
.LBB1_104:                              ;   in Loop: Header=BB1_4 Depth=1
	s_or_b64 exec, exec, s[38:39]
	s_andn2_b64 s[34:35], s[34:35], exec
	s_or_b64 exec, exec, s[36:37]
	s_and_saveexec_b64 s[4:5], s[34:35]
	s_xor_b64 s[4:5], exec, s[4:5]
	s_cbranch_execz .LBB1_2
.LBB1_105:                              ;   in Loop: Header=BB1_4 Depth=1
	s_and_saveexec_b64 s[8:9], s[0:1]
	s_xor_b64 s[8:9], exec, s[8:9]
	s_cbranch_execz .LBB1_1
; %bb.106:                              ;   in Loop: Header=BB1_4 Depth=1
	v_ashrrev_i32_e32 v3, 31, v2
	v_lshlrev_b64 v[2:3], 2, v[2:3]
	v_mov_b32_e32 v4, s25
	v_add_co_u32_e32 v2, vcc, s24, v2
	v_addc_co_u32_e32 v3, vcc, v4, v3, vcc
	global_store_dword v[2:3], v33, off
	s_branch .LBB1_1
.LBB1_107:
	s_or_b64 exec, exec, s[28:29]
	v_or_b32_e32 v0, s6, v0
	v_cmp_eq_u32_e32 vcc, 0, v0
	s_and_saveexec_b64 s[0:1], vcc
	s_cbranch_execz .LBB1_109
; %bb.108:
	s_ashr_i32 s11, s10, 31
	s_lshl_b64 s[0:1], s[10:11], 2
	s_add_u32 s2, s18, s0
	s_addc_u32 s3, s19, s1
	s_add_u32 s0, s12, s0
	s_addc_u32 s1, s13, s1
	s_load_dword s0, s[0:1], 0x0
	v_mov_b32_e32 v0, 0
	s_waitcnt lgkmcnt(0)
	s_lshl_b32 s0, s0, 1
	v_mov_b32_e32 v1, s0
	global_store_dword v0, v1, s[2:3]
.LBB1_109:
	s_endpgm
	.section	.rodata,"a",@progbits
	.p2align	6, 0x0
	.amdhsa_kernel _ZL14largeNetKernelILi24ELi64EEvPKiS1_S1_PiS2_S2_P4edgeiS2_
		.amdhsa_group_segment_fixed_size 43104
		.amdhsa_private_segment_fixed_size 0
		.amdhsa_kernarg_size 72
		.amdhsa_user_sgpr_count 6
		.amdhsa_user_sgpr_private_segment_buffer 1
		.amdhsa_user_sgpr_dispatch_ptr 0
		.amdhsa_user_sgpr_queue_ptr 0
		.amdhsa_user_sgpr_kernarg_segment_ptr 1
		.amdhsa_user_sgpr_dispatch_id 0
		.amdhsa_user_sgpr_flat_scratch_init 0
		.amdhsa_user_sgpr_private_segment_size 0
		.amdhsa_uses_dynamic_stack 0
		.amdhsa_system_sgpr_private_segment_wavefront_offset 0
		.amdhsa_system_sgpr_workgroup_id_x 1
		.amdhsa_system_sgpr_workgroup_id_y 0
		.amdhsa_system_sgpr_workgroup_id_z 0
		.amdhsa_system_sgpr_workgroup_info 0
		.amdhsa_system_vgpr_workitem_id 0
		.amdhsa_next_free_vgpr 54
		.amdhsa_next_free_sgpr 98
		.amdhsa_reserve_vcc 1
		.amdhsa_reserve_flat_scratch 0
		.amdhsa_float_round_mode_32 0
		.amdhsa_float_round_mode_16_64 0
		.amdhsa_float_denorm_mode_32 3
		.amdhsa_float_denorm_mode_16_64 3
		.amdhsa_dx10_clamp 1
		.amdhsa_ieee_mode 1
		.amdhsa_fp16_overflow 0
		.amdhsa_exception_fp_ieee_invalid_op 0
		.amdhsa_exception_fp_denorm_src 0
		.amdhsa_exception_fp_ieee_div_zero 0
		.amdhsa_exception_fp_ieee_overflow 0
		.amdhsa_exception_fp_ieee_underflow 0
		.amdhsa_exception_fp_ieee_inexact 0
		.amdhsa_exception_int_div_zero 0
	.end_amdhsa_kernel
	.section	.text._ZL14largeNetKernelILi24ELi64EEvPKiS1_S1_PiS2_S2_P4edgeiS2_,"axG",@progbits,_ZL14largeNetKernelILi24ELi64EEvPKiS1_S1_PiS2_S2_P4edgeiS2_,comdat
.Lfunc_end1:
	.size	_ZL14largeNetKernelILi24ELi64EEvPKiS1_S1_PiS2_S2_P4edgeiS2_, .Lfunc_end1-_ZL14largeNetKernelILi24ELi64EEvPKiS1_S1_PiS2_S2_P4edgeiS2_
                                        ; -- End function
	.set _ZL14largeNetKernelILi24ELi64EEvPKiS1_S1_PiS2_S2_P4edgeiS2_.num_vgpr, 54
	.set _ZL14largeNetKernelILi24ELi64EEvPKiS1_S1_PiS2_S2_P4edgeiS2_.num_agpr, 0
	.set _ZL14largeNetKernelILi24ELi64EEvPKiS1_S1_PiS2_S2_P4edgeiS2_.numbered_sgpr, 59
	.set _ZL14largeNetKernelILi24ELi64EEvPKiS1_S1_PiS2_S2_P4edgeiS2_.num_named_barrier, 0
	.set _ZL14largeNetKernelILi24ELi64EEvPKiS1_S1_PiS2_S2_P4edgeiS2_.private_seg_size, 0
	.set _ZL14largeNetKernelILi24ELi64EEvPKiS1_S1_PiS2_S2_P4edgeiS2_.uses_vcc, 1
	.set _ZL14largeNetKernelILi24ELi64EEvPKiS1_S1_PiS2_S2_P4edgeiS2_.uses_flat_scratch, 0
	.set _ZL14largeNetKernelILi24ELi64EEvPKiS1_S1_PiS2_S2_P4edgeiS2_.has_dyn_sized_stack, 0
	.set _ZL14largeNetKernelILi24ELi64EEvPKiS1_S1_PiS2_S2_P4edgeiS2_.has_recursion, 0
	.set _ZL14largeNetKernelILi24ELi64EEvPKiS1_S1_PiS2_S2_P4edgeiS2_.has_indirect_call, 0
	.section	.AMDGPU.csdata,"",@progbits
; Kernel info:
; codeLenInByte = 4616
; TotalNumSgprs: 63
; NumVgprs: 54
; ScratchSize: 0
; MemoryBound: 0
; FloatMode: 240
; IeeeMode: 1
; LDSByteSize: 43104 bytes/workgroup (compile time only)
; SGPRBlocks: 12
; VGPRBlocks: 13
; NumSGPRsForWavesPerEU: 102
; NumVGPRsForWavesPerEU: 54
; Occupancy: 4
; WaveLimiterHint : 1
; COMPUTE_PGM_RSRC2:SCRATCH_EN: 0
; COMPUTE_PGM_RSRC2:USER_SGPR: 6
; COMPUTE_PGM_RSRC2:TRAP_HANDLER: 0
; COMPUTE_PGM_RSRC2:TGID_X_EN: 1
; COMPUTE_PGM_RSRC2:TGID_Y_EN: 0
; COMPUTE_PGM_RSRC2:TGID_Z_EN: 0
; COMPUTE_PGM_RSRC2:TIDIG_COMP_CNT: 0
	.section	.text._ZL14smallNetKernelILi3ELi512EEvPKiPiS2_P4edgeS2_,"axG",@progbits,_ZL14smallNetKernelILi3ELi512EEvPKiPiS2_P4edgeS2_,comdat
	.globl	_ZL14smallNetKernelILi3ELi512EEvPKiPiS2_P4edgeS2_ ; -- Begin function _ZL14smallNetKernelILi3ELi512EEvPKiPiS2_P4edgeS2_
	.p2align	8
	.type	_ZL14smallNetKernelILi3ELi512EEvPKiPiS2_P4edgeS2_,@function
_ZL14smallNetKernelILi3ELi512EEvPKiPiS2_P4edgeS2_: ; @_ZL14smallNetKernelILi3ELi512EEvPKiPiS2_P4edgeS2_
; %bb.0:
	v_mbcnt_lo_u32_b32 v1, -1, 0
	v_mbcnt_hi_u32_b32 v1, -1, v1
	v_lshlrev_b32_e32 v1, 2, v1
	v_and_b32_e32 v8, 63, v0
	v_and_b32_e32 v9, 0x100, v1
	s_getpc_b64 s[2:3]
	s_add_u32 s2, s2, _ZL6wlsize@rel32@lo+4
	s_addc_u32 s3, s3, _ZL6wlsize@rel32@hi+12
	v_lshrrev_b32_e32 v2, 6, v0
	v_lshlrev_b64 v[0:1], v0, -1
	s_load_dwordx8 s[8:15], s[4:5], 0x0
	s_load_dwordx2 s[6:7], s[4:5], 0x20
	s_load_dword s30, s[2:3], 0x0
	v_not_b32_e32 v12, v0
	v_lshlrev_b32_e32 v0, 10, v2
	s_mov_b32 s31, 0x5040100
	v_lshlrev_b32_e32 v3, 11, v2
	v_or_b32_e32 v13, 0x9000, v0
	v_add_u32_e32 v15, 0x9c00, v0
	v_perm_b32 v0, v8, v8, s31
	v_not_b32_e32 v11, v1
	v_mov_b32_e32 v1, 0xa800
	v_or_b32_e32 v20, 0x400000, v0
	v_lshl_or_b32 v0, v8, 2, v3
	v_cmp_eq_u32_e64 s[0:1], 0, v8
	v_or_b32_e32 v10, 0x6000, v3
	v_lshl_or_b32 v14, v2, 2, v1
	v_add_u32_e32 v16, 0x7800, v3
	v_lshlrev_b32_e32 v17, 13, v2
	v_not_b32_e32 v18, v8
	v_or_b32_e32 v19, 64, v8
	s_mov_b32 s33, 0x400000
	v_add_u32_e32 v21, 0x7800, v0
	s_mov_b64 s[16:17], 0
	v_mov_b32_e32 v22, 0
	v_bfrev_b32_e32 v23, -2
	s_movk_i32 s34, 0x2c0
	s_movk_i32 s35, 0x2bf
	;; [unrolled: 1-line block ×4, first 2 shown]
	v_mov_b32_e32 v24, -1
	v_mov_b32_e32 v25, 1
                                        ; implicit-def: $vgpr0
	s_branch .LBB2_3
.LBB2_1:                                ;   in Loop: Header=BB2_3 Depth=1
	s_xor_b64 s[2:3], exec, -1
.LBB2_2:                                ;   in Loop: Header=BB2_3 Depth=1
	s_or_b64 exec, exec, s[18:19]
	s_and_b64 s[2:3], exec, s[2:3]
	s_or_b64 s[16:17], s[2:3], s[16:17]
	s_andn2_b64 exec, exec, s[16:17]
	s_cbranch_execz .LBB2_77
.LBB2_3:                                ; =>This Loop Header: Depth=1
                                        ;     Child Loop BB2_10 Depth 2
                                        ;       Child Loop BB2_12 Depth 3
                                        ;       Child Loop BB2_16 Depth 3
	;; [unrolled: 1-line block ×4, first 2 shown]
                                        ;         Child Loop BB2_30 Depth 4
                                        ;       Child Loop BB2_36 Depth 3
                                        ;       Child Loop BB2_41 Depth 3
	;; [unrolled: 1-line block ×3, first 2 shown]
                                        ;         Child Loop BB2_51 Depth 4
                                        ;           Child Loop BB2_56 Depth 5
                                        ;       Child Loop BB2_63 Depth 3
	s_and_saveexec_b64 s[2:3], s[0:1]
	s_cbranch_execz .LBB2_7
; %bb.4:                                ;   in Loop: Header=BB2_3 Depth=1
	s_mov_b64 s[18:19], exec
	v_mbcnt_lo_u32_b32 v0, s18, 0
	v_mbcnt_hi_u32_b32 v0, s19, v0
	v_cmp_eq_u32_e32 vcc, 0, v0
                                        ; implicit-def: $vgpr1
	s_and_saveexec_b64 s[4:5], vcc
	s_cbranch_execz .LBB2_6
; %bb.5:                                ;   in Loop: Header=BB2_3 Depth=1
	s_bcnt1_i32_b64 s20, s[18:19]
	s_getpc_b64 s[18:19]
	s_add_u32 s18, s18, _ZL8currpos2@rel32@lo+4
	s_addc_u32 s19, s19, _ZL8currpos2@rel32@hi+12
	v_mov_b32_e32 v1, s20
	global_atomic_add v1, v22, v1, s[18:19] glc
.LBB2_6:                                ;   in Loop: Header=BB2_3 Depth=1
	s_or_b64 exec, exec, s[4:5]
	s_waitcnt vmcnt(0)
	v_readfirstlane_b32 s4, v1
	v_add_u32_e32 v0, s4, v0
.LBB2_7:                                ;   in Loop: Header=BB2_3 Depth=1
	s_or_b64 exec, exec, s[2:3]
	ds_bpermute_b32 v0, v9, v0
	s_mov_b64 s[2:3], -1
	s_waitcnt lgkmcnt(0)
	v_cmp_gt_i32_e32 vcc, s30, v0
	s_and_saveexec_b64 s[18:19], vcc
	s_cbranch_execz .LBB2_2
; %bb.8:                                ;   in Loop: Header=BB2_3 Depth=1
	v_ashrrev_i32_e32 v1, 31, v0
	v_lshlrev_b64 v[1:2], 2, v[0:1]
	v_mov_b32_e32 v3, s7
	v_add_co_u32_e32 v1, vcc, s6, v1
	v_addc_co_u32_e32 v2, vcc, v3, v2, vcc
	global_load_dword v1, v[1:2], off
	v_mov_b32_e32 v3, s9
	v_mov_b32_e32 v4, s13
	v_mov_b32_e32 v5, s15
	s_waitcnt vmcnt(0)
	v_ashrrev_i32_e32 v2, 31, v1
	v_lshlrev_b64 v[1:2], 2, v[1:2]
	v_add_co_u32_e32 v1, vcc, s8, v1
	v_addc_co_u32_e32 v2, vcc, v3, v2, vcc
	global_load_dwordx2 v[1:2], v[1:2], off
	v_mov_b32_e32 v3, s11
	s_waitcnt vmcnt(0)
	v_sub_u32_e32 v31, v2, v1
	v_lshlrev_b32_e32 v1, 1, v1
	v_ashrrev_i32_e32 v2, 31, v1
	v_lshlrev_b64 v[1:2], 2, v[1:2]
	v_add_co_u32_e32 v26, vcc, s10, v1
	v_addc_co_u32_e32 v27, vcc, v3, v2, vcc
	v_add_co_u32_e32 v28, vcc, s12, v1
	v_addc_co_u32_e32 v29, vcc, v4, v2, vcc
	;; [unrolled: 2-line block ×3, first 2 shown]
	s_branch .LBB2_10
.LBB2_9:                                ;   in Loop: Header=BB2_10 Depth=2
	v_cndmask_b32_e64 v1, 0, 1, s[4:5]
	v_cmp_ne_u32_e32 vcc, 0, v1
	s_cbranch_vccz .LBB2_1
.LBB2_10:                               ;   Parent Loop BB2_3 Depth=1
                                        ; =>  This Loop Header: Depth=2
                                        ;       Child Loop BB2_12 Depth 3
                                        ;       Child Loop BB2_16 Depth 3
                                        ;       Child Loop BB2_21 Depth 3
                                        ;       Child Loop BB2_25 Depth 3
                                        ;         Child Loop BB2_30 Depth 4
                                        ;       Child Loop BB2_36 Depth 3
                                        ;       Child Loop BB2_41 Depth 3
	;; [unrolled: 1-line block ×3, first 2 shown]
                                        ;         Child Loop BB2_51 Depth 4
                                        ;           Child Loop BB2_56 Depth 5
                                        ;       Child Loop BB2_63 Depth 3
	v_bfe_i32 v33, v31, 0, 16
	v_add_u32_e32 v34, -1, v33
	v_cmp_gt_i32_sdwa s[2:3], sext(v34), v8 src0_sel:WORD_0 src1_sel:DWORD
	s_and_saveexec_b64 s[20:21], s[2:3]
	s_cbranch_execz .LBB2_22
; %bb.11:                               ;   in Loop: Header=BB2_10 Depth=2
	s_mov_b64 s[2:3], 0
	v_mov_b32_e32 v1, v8
.LBB2_12:                               ;   Parent Loop BB2_3 Depth=1
                                        ;     Parent Loop BB2_10 Depth=2
                                        ; =>    This Inner Loop Header: Depth=3
	s_waitcnt lgkmcnt(0)
	v_bfe_i32 v2, v1, 0, 16
	v_add_u16_e32 v1, 64, v1
	v_cmp_le_i32_sdwa s[4:5], sext(v34), sext(v1) src0_sel:WORD_0 src1_sel:WORD_0
	v_lshl_add_u32 v2, v2, 2, v10
	s_or_b64 s[2:3], s[4:5], s[2:3]
	ds_write_b32 v2, v23
	s_andn2_b64 exec, exec, s[2:3]
	s_cbranch_execnz .LBB2_12
; %bb.13:                               ;   in Loop: Header=BB2_10 Depth=2
	s_or_b64 exec, exec, s[2:3]
	v_add_u32_sdwa v3, sext(v34), v18 dst_sel:DWORD dst_unused:UNUSED_PAD src0_sel:WORD_0 src1_sel:DWORD
	v_cmp_gt_u32_e64 s[22:23], s34, v3
	v_cmp_lt_u32_e32 vcc, s35, v3
	v_mov_b32_e32 v1, v8
	s_and_saveexec_b64 s[24:25], vcc
	s_cbranch_execz .LBB2_19
; %bb.14:                               ;   in Loop: Header=BB2_10 Depth=2
	v_lshrrev_b32_e32 v2, 6, v3
	v_lshlrev_b16_e32 v1, 6, v2
	v_cmp_gt_u16_e32 vcc, s36, v2
	v_add_u16_e32 v1, v19, v1
	v_cmp_gt_u32_e64 s[4:5], s33, v3
	v_cmp_ge_i16_e64 s[2:3], v1, v19
	s_and_b64 s[4:5], vcc, s[4:5]
	s_and_b64 s[26:27], s[4:5], s[2:3]
	s_mov_b64 s[4:5], -1
	v_mov_b32_e32 v1, v8
	s_and_saveexec_b64 s[2:3], s[26:27]
	s_cbranch_execz .LBB2_18
; %bb.15:                               ;   in Loop: Header=BB2_10 Depth=2
	v_add_u32_e32 v2, 1, v2
	v_and_b32_e32 v3, 0x7fffffe, v2
	s_mov_b64 s[4:5], 0
	v_mov_b32_e32 v1, v3
	v_mov_b32_e32 v4, v20
.LBB2_16:                               ;   Parent Loop BB2_3 Depth=1
                                        ;     Parent Loop BB2_10 Depth=2
                                        ; =>    This Inner Loop Header: Depth=3
	v_add_u32_e32 v1, -2, v1
	v_ashrrev_i32_e32 v6, 16, v4
	v_bfe_i32 v7, v4, 0, 16
	v_cmp_eq_u32_e32 vcc, 0, v1
	v_pk_add_u16 v5, v4, 1 op_sel_hi:[1,0]
	v_pk_add_u16 v4, v4, s37 op_sel_hi:[1,0]
	v_lshl_add_u32 v7, v7, 1, v13
	v_lshl_add_u32 v6, v6, 1, v13
	s_or_b64 s[4:5], vcc, s[4:5]
	ds_write_b16 v7, v5
	ds_write_b16_d16_hi v6, v5
	s_andn2_b64 exec, exec, s[4:5]
	s_cbranch_execnz .LBB2_16
; %bb.17:                               ;   in Loop: Header=BB2_10 Depth=2
	s_or_b64 exec, exec, s[4:5]
	v_lshlrev_b16_e32 v1, 6, v3
	v_cmp_ne_u32_e32 vcc, v2, v3
	v_or_b32_e32 v1, v1, v8
	s_orn2_b64 s[4:5], vcc, exec
.LBB2_18:                               ;   in Loop: Header=BB2_10 Depth=2
	s_or_b64 exec, exec, s[2:3]
	s_andn2_b64 s[2:3], s[22:23], exec
	s_and_b64 s[4:5], s[4:5], exec
	s_or_b64 s[22:23], s[2:3], s[4:5]
.LBB2_19:                               ;   in Loop: Header=BB2_10 Depth=2
	s_or_b64 exec, exec, s[24:25]
	s_and_b64 exec, exec, s[22:23]
	s_cbranch_execz .LBB2_22
; %bb.20:                               ;   in Loop: Header=BB2_10 Depth=2
	s_mov_b64 s[2:3], 0
.LBB2_21:                               ;   Parent Loop BB2_3 Depth=1
                                        ;     Parent Loop BB2_10 Depth=2
                                        ; =>    This Inner Loop Header: Depth=3
	v_add_u16_e32 v2, 1, v1
	v_bfe_i32 v3, v1, 0, 16
	v_add_u16_e32 v1, 64, v1
	v_cmp_le_i32_sdwa s[4:5], sext(v34), sext(v1) src0_sel:WORD_0 src1_sel:WORD_0
	v_lshl_add_u32 v3, v3, 1, v13
	s_or_b64 s[2:3], s[4:5], s[2:3]
	ds_write_b16 v3, v2
	s_andn2_b64 exec, exec, s[2:3]
	s_cbranch_execnz .LBB2_21
.LBB2_22:                               ;   in Loop: Header=BB2_10 Depth=2
	s_or_b64 exec, exec, s[20:21]
	v_cmp_lt_i16_e32 vcc, 1, v31
	s_and_saveexec_b64 s[2:3], vcc
	s_cbranch_execz .LBB2_34
; %bb.23:                               ;   in Loop: Header=BB2_10 Depth=2
	s_waitcnt lgkmcnt(0)
	v_mov_b32_e32 v2, 0
	s_mov_b64 s[4:5], 0
	s_mov_b32 s26, 0
	v_mov_b32_e32 v1, v34
	s_branch .LBB2_25
.LBB2_24:                               ;   in Loop: Header=BB2_25 Depth=3
	s_or_b64 exec, exec, s[20:21]
	s_add_i32 s26, s26, 1
	s_sext_i32_i16 s20, s26
	v_cmp_ge_i32_e32 vcc, s20, v34
	s_or_b64 s[4:5], vcc, s[4:5]
	s_andn2_b64 exec, exec, s[4:5]
	s_cbranch_execz .LBB2_34
.LBB2_25:                               ;   Parent Loop BB2_3 Depth=1
                                        ;     Parent Loop BB2_10 Depth=2
                                        ; =>    This Loop Header: Depth=3
                                        ;         Child Loop BB2_30 Depth 4
	s_and_saveexec_b64 s[20:21], s[0:1]
; %bb.26:                               ;   in Loop: Header=BB2_25 Depth=3
	ds_write_b32 v14, v23
; %bb.27:                               ;   in Loop: Header=BB2_25 Depth=3
	s_or_b64 exec, exec, s[20:21]
	v_cmp_gt_i16_e32 vcc, v1, v8
	s_and_saveexec_b64 s[20:21], vcc
	s_cbranch_execz .LBB2_32
; %bb.28:                               ;   in Loop: Header=BB2_25 Depth=3
	s_waitcnt lgkmcnt(0)
	v_bfe_i32 v3, v2, 0, 16
	v_ashrrev_i32_e32 v4, 31, v3
	v_lshlrev_b64 v[4:5], 2, v[3:4]
	s_mov_b64 s[22:23], 0
	v_add_co_u32_e32 v6, vcc, v26, v4
	v_addc_co_u32_e32 v7, vcc, v27, v5, vcc
	v_add_co_u32_e32 v4, vcc, v28, v4
	v_addc_co_u32_e32 v5, vcc, v29, v5, vcc
	global_load_dword v3, v[6:7], off
	v_mov_b32_e32 v6, v8
	global_load_dword v4, v[4:5], off
	v_mov_b32_e32 v5, v8
	s_branch .LBB2_30
.LBB2_29:                               ;   in Loop: Header=BB2_30 Depth=4
	s_or_b64 exec, exec, s[24:25]
	v_lshl_add_u32 v5, v7, 9, v5
	ds_min_i32 v14, v5
	v_add_u16_e32 v6, 64, v6
	v_cmp_ge_i16_e32 vcc, v6, v1
	s_or_b64 s[22:23], vcc, s[22:23]
	v_bfe_i32 v5, v6, 0, 16
	s_andn2_b64 exec, exec, s[22:23]
	s_cbranch_execz .LBB2_32
.LBB2_30:                               ;   Parent Loop BB2_3 Depth=1
                                        ;     Parent Loop BB2_10 Depth=2
                                        ;       Parent Loop BB2_25 Depth=3
                                        ; =>      This Inner Loop Header: Depth=4
	v_bfe_i32 v6, v6, 0, 16
	v_lshl_add_u32 v7, v6, 1, v13
	ds_read_u16 v36, v7
	v_lshl_add_u32 v35, v6, 2, v10
	ds_read_b32 v7, v35
	s_waitcnt lgkmcnt(1)
	v_bfe_i32 v36, v36, 0, 16
	v_ashrrev_i32_e32 v37, 31, v36
	v_lshlrev_b64 v[36:37], 2, v[36:37]
	v_add_co_u32_e32 v38, vcc, v26, v36
	v_addc_co_u32_e32 v39, vcc, v27, v37, vcc
	v_add_co_u32_e32 v36, vcc, v28, v36
	v_addc_co_u32_e32 v37, vcc, v29, v37, vcc
	global_load_dword v38, v[38:39], off
	s_nop 0
	global_load_dword v36, v[36:37], off
	s_waitcnt vmcnt(1)
	v_sub_u32_e32 v37, v3, v38
	v_sub_u32_e32 v38, 0, v37
	s_waitcnt vmcnt(0)
	v_sub_u32_e32 v36, v4, v36
	v_sub_u32_e32 v39, 0, v36
	v_max_i32_e32 v37, v37, v38
	v_max_i32_e32 v36, v36, v39
	v_add_u32_e32 v36, v36, v37
	s_waitcnt lgkmcnt(0)
	v_cmp_gt_i32_e32 vcc, v7, v36
	s_and_saveexec_b64 s[24:25], vcc
	s_cbranch_execz .LBB2_29
; %bb.31:                               ;   in Loop: Header=BB2_30 Depth=4
	v_lshl_add_u32 v7, v6, 1, v15
	ds_write_b32 v35, v36
	ds_write_b16 v7, v2
	v_mov_b32_e32 v7, v36
	s_branch .LBB2_29
.LBB2_32:                               ;   in Loop: Header=BB2_25 Depth=3
	s_or_b64 exec, exec, s[20:21]
	s_waitcnt lgkmcnt(0)
	ds_read_b32 v2, v14
	v_add_u16_e32 v1, -1, v1
	s_waitcnt lgkmcnt(0)
	v_ashrrev_i32_e32 v3, 31, v2
	v_lshrrev_b32_e32 v3, 23, v3
	v_add_u32_e32 v3, v2, v3
	v_and_b32_e32 v3, 0xfe00, v3
	v_sub_u32_e32 v2, v2, v3
	v_bfe_i32 v4, v2, 0, 16
	v_lshl_add_u32 v3, v4, 1, v13
	ds_read_u16 v2, v3
	s_and_saveexec_b64 s[20:21], s[0:1]
	s_cbranch_execz .LBB2_24
; %bb.33:                               ;   in Loop: Header=BB2_25 Depth=3
	v_bfe_i32 v36, v1, 0, 16
	v_lshl_add_u32 v7, v4, 1, v15
	v_lshl_add_u32 v37, v36, 2, v10
	v_lshlrev_b32_e32 v36, 1, v36
	ds_read_u16 v35, v7
	v_add_u32_e32 v38, v15, v36
	v_add_u32_e32 v36, v13, v36
	s_sext_i32_i16 s22, s26
	ds_read_b32 v37, v37
	ds_read_u16 v38, v38
	ds_read_u16 v36, v36
	s_ashr_i32 s23, s22, 31
	s_lshl_b64 s[22:23], s[22:23], 2
	v_mov_b32_e32 v6, s23
	v_add_co_u32_e32 v5, vcc, s22, v30
	v_addc_co_u32_e32 v6, vcc, v32, v6, vcc
	s_waitcnt lgkmcnt(3)
	v_perm_b32 v35, v2, v35, s31
	v_lshl_add_u32 v4, v4, 2, v10
	global_store_dword v[5:6], v35, off
	s_waitcnt lgkmcnt(2)
	ds_write_b32 v4, v37
	s_waitcnt lgkmcnt(2)
	ds_write_b16 v7, v38
	s_waitcnt lgkmcnt(2)
	ds_write_b16 v3, v36
	s_branch .LBB2_24
.LBB2_34:                               ;   in Loop: Header=BB2_10 Depth=2
	s_or_b64 exec, exec, s[2:3]
	v_cmp_gt_i16_e32 vcc, v31, v8
	s_and_saveexec_b64 s[4:5], vcc
	s_cbranch_execz .LBB2_38
; %bb.35:                               ;   in Loop: Header=BB2_10 Depth=2
	v_and_b32_e32 v33, 0xffff, v31
	s_mov_b64 s[20:21], 0
	v_mov_b32_e32 v1, v21
	s_waitcnt lgkmcnt(0)
	v_mov_b32_e32 v2, v8
.LBB2_36:                               ;   Parent Loop BB2_3 Depth=1
                                        ;     Parent Loop BB2_10 Depth=2
                                        ; =>    This Inner Loop Header: Depth=3
	v_add_u32_e32 v2, 64, v2
	v_cmp_ge_u32_e64 s[2:3], v2, v33
	ds_write_b32 v1, v22
	s_or_b64 s[20:21], s[2:3], s[20:21]
	v_add_u32_e32 v1, 0x100, v1
	s_andn2_b64 exec, exec, s[20:21]
	s_cbranch_execnz .LBB2_36
; %bb.37:                               ;   in Loop: Header=BB2_10 Depth=2
	s_or_b64 exec, exec, s[20:21]
	v_add_u32_e32 v34, -1, v33
.LBB2_38:                               ;   in Loop: Header=BB2_10 Depth=2
	s_or_b64 exec, exec, s[4:5]
	v_cmp_gt_i32_e64 s[2:3], v34, v8
	s_and_saveexec_b64 s[4:5], s[2:3]
	s_cbranch_execz .LBB2_45
; %bb.39:                               ;   in Loop: Header=BB2_10 Depth=2
	s_mov_b64 s[20:21], 0
	v_mov_b32_e32 v35, v8
	s_branch .LBB2_41
.LBB2_40:                               ;   in Loop: Header=BB2_41 Depth=3
	s_or_b64 exec, exec, s[2:3]
	v_add_u16_e32 v35, 64, v35
	v_cmp_le_i32_sdwa s[2:3], v34, sext(v35) src0_sel:DWORD src1_sel:WORD_0
	s_or_b64 s[20:21], s[2:3], s[20:21]
	s_andn2_b64 exec, exec, s[20:21]
	s_cbranch_execz .LBB2_45
.LBB2_41:                               ;   Parent Loop BB2_3 Depth=1
                                        ;     Parent Loop BB2_10 Depth=2
                                        ; =>    This Inner Loop Header: Depth=3
	v_bfe_i32 v36, v35, 0, 16
	v_ashrrev_i32_e32 v37, 31, v36
	s_waitcnt lgkmcnt(0)
	v_lshlrev_b64 v[1:2], 2, v[36:37]
	v_lshl_add_u32 v36, v36, 2, v10
	v_add_co_u32_e64 v1, s[2:3], v30, v1
	v_addc_co_u32_e64 v2, s[2:3], v32, v2, s[2:3]
	global_load_dword v1, v[1:2], off
	s_waitcnt vmcnt(0)
	v_bfe_i32 v3, v1, 0, 16
	v_lshrrev_b32_e32 v2, 16, v1
	v_ashrrev_i32_e32 v4, 31, v3
	v_bfe_i32 v1, v2, 0, 16
	v_lshlrev_b64 v[4:5], 2, v[3:4]
	v_ashrrev_i32_e32 v2, 31, v1
	v_lshlrev_b64 v[6:7], 2, v[1:2]
	v_add_co_u32_e64 v37, s[2:3], v26, v4
	v_addc_co_u32_e64 v38, s[2:3], v27, v5, s[2:3]
	v_add_co_u32_e64 v39, s[2:3], v26, v6
	v_addc_co_u32_e64 v40, s[2:3], v27, v7, s[2:3]
	global_load_dword v2, v[39:40], off
	global_load_dword v41, v[37:38], off
	ds_write_b32 v36, v24
	s_waitcnt vmcnt(0)
	v_cmp_ne_u32_e64 s[22:23], v2, v41
	v_cmp_eq_u32_e64 s[2:3], v2, v41
	s_and_saveexec_b64 s[24:25], s[2:3]
	s_cbranch_execz .LBB2_43
; %bb.42:                               ;   in Loop: Header=BB2_41 Depth=3
	v_add_co_u32_e64 v6, s[2:3], v28, v6
	v_addc_co_u32_e64 v7, s[2:3], v29, v7, s[2:3]
	v_add_co_u32_e64 v4, s[2:3], v28, v4
	v_addc_co_u32_e64 v5, s[2:3], v29, v5, s[2:3]
	global_load_dword v2, v[6:7], off
	global_load_dword v36, v[4:5], off
	s_andn2_b64 s[22:23], s[22:23], exec
	s_waitcnt vmcnt(0)
	v_cmp_ne_u32_e64 s[2:3], v2, v36
	s_and_b64 s[2:3], s[2:3], exec
	s_or_b64 s[22:23], s[22:23], s[2:3]
.LBB2_43:                               ;   in Loop: Header=BB2_41 Depth=3
	s_or_b64 exec, exec, s[24:25]
	s_and_saveexec_b64 s[2:3], s[22:23]
	s_cbranch_execz .LBB2_40
; %bb.44:                               ;   in Loop: Header=BB2_41 Depth=3
	v_lshl_add_u32 v2, v3, 2, v16
	ds_add_rtn_u32 v2, v2, v25
	v_lshlrev_b32_e32 v3, 4, v3
	s_waitcnt lgkmcnt(0)
	v_lshlrev_b32_e32 v2, 1, v2
	v_add3_u32 v2, v17, v3, v2
	ds_write_b16 v2, v35
	v_lshl_add_u32 v2, v1, 2, v16
	ds_add_rtn_u32 v2, v2, v25
	v_lshlrev_b32_e32 v1, 4, v1
	s_waitcnt lgkmcnt(0)
	v_lshlrev_b32_e32 v2, 1, v2
	v_add3_u32 v1, v17, v1, v2
	ds_write_b16 v1, v35
	s_branch .LBB2_40
.LBB2_45:                               ;   in Loop: Header=BB2_10 Depth=2
	s_or_b64 exec, exec, s[4:5]
	s_and_saveexec_b64 s[2:3], vcc
	s_cbranch_execz .LBB2_60
; %bb.46:                               ;   in Loop: Header=BB2_10 Depth=2
	s_mov_b64 s[4:5], 0
	v_mov_b32_e32 v1, v8
	s_branch .LBB2_48
.LBB2_47:                               ;   in Loop: Header=BB2_48 Depth=3
	s_or_b64 exec, exec, s[20:21]
	v_add_u16_e32 v1, 64, v1
	v_cmp_ge_i16_e32 vcc, v1, v31
	s_or_b64 s[4:5], vcc, s[4:5]
	s_andn2_b64 exec, exec, s[4:5]
	s_cbranch_execz .LBB2_60
.LBB2_48:                               ;   Parent Loop BB2_3 Depth=1
                                        ;     Parent Loop BB2_10 Depth=2
                                        ; =>    This Loop Header: Depth=3
                                        ;         Child Loop BB2_51 Depth 4
                                        ;           Child Loop BB2_56 Depth 5
	v_bfe_i32 v1, v1, 0, 16
	s_waitcnt lgkmcnt(0)
	v_lshl_add_u32 v2, v1, 2, v16
	ds_read_b32 v6, v2
	s_waitcnt lgkmcnt(0)
	v_cmp_lt_i32_e32 vcc, 1, v6
	s_and_saveexec_b64 s[20:21], vcc
	s_cbranch_execz .LBB2_47
; %bb.49:                               ;   in Loop: Header=BB2_48 Depth=3
	v_ashrrev_i32_e32 v2, 31, v1
	v_lshlrev_b64 v[2:3], 2, v[1:2]
	v_lshl_add_u32 v35, v1, 4, v17
	v_add_co_u32_e32 v4, vcc, v26, v2
	s_waitcnt vmcnt(0)
	v_addc_co_u32_e32 v5, vcc, v27, v3, vcc
	v_add_co_u32_e32 v2, vcc, v28, v2
	v_addc_co_u32_e32 v3, vcc, v29, v3, vcc
	global_load_dword v7, v[4:5], off
	global_load_dword v34, v[2:3], off
	v_add_u32_e32 v36, -1, v6
	s_mov_b32 s38, 0
	s_mov_b64 s[22:23], 0
	s_branch .LBB2_51
.LBB2_50:                               ;   in Loop: Header=BB2_51 Depth=4
	s_or_b64 exec, exec, s[24:25]
	v_cmp_ge_i32_e32 vcc, s39, v36
	s_or_b64 s[22:23], vcc, s[22:23]
	s_andn2_b64 exec, exec, s[22:23]
	s_cbranch_execz .LBB2_47
.LBB2_51:                               ;   Parent Loop BB2_3 Depth=1
                                        ;     Parent Loop BB2_10 Depth=2
                                        ;       Parent Loop BB2_48 Depth=3
                                        ; =>      This Loop Header: Depth=4
                                        ;           Child Loop BB2_56 Depth 5
	s_sext_i32_i8 s24, s38
	v_lshl_add_u32 v2, s24, 1, v35
	ds_read_u16 v2, v2
	s_waitcnt lgkmcnt(0)
	v_bfe_i32 v2, v2, 0, 16
	v_ashrrev_i32_e32 v3, 31, v2
	v_lshlrev_b64 v[3:4], 2, v[2:3]
	v_add_co_u32_e32 v3, vcc, v30, v3
	v_addc_co_u32_e32 v4, vcc, v32, v4, vcc
	global_load_ushort v5, v[3:4], off
	s_waitcnt vmcnt(0)
	v_cmp_eq_u16_e32 vcc, v1, v5
	s_and_saveexec_b64 s[24:25], vcc
	s_cbranch_execz .LBB2_53
; %bb.52:                               ;   in Loop: Header=BB2_51 Depth=4
	global_load_ushort v5, v[3:4], off offset:2
.LBB2_53:                               ;   in Loop: Header=BB2_51 Depth=4
	s_or_b64 exec, exec, s[24:25]
	s_add_i32 s38, s38, 1
	s_sext_i32_i8 s39, s38
	v_cmp_lt_i32_e32 vcc, s39, v6
	s_and_saveexec_b64 s[24:25], vcc
	s_cbranch_execz .LBB2_50
; %bb.54:                               ;   in Loop: Header=BB2_51 Depth=4
	s_waitcnt vmcnt(0)
	v_bfe_i32 v3, v5, 0, 16
	v_ashrrev_i32_e32 v4, 31, v3
	v_lshlrev_b64 v[3:4], 2, v[3:4]
	s_mov_b64 s[26:27], 0
	v_add_co_u32_e32 v37, vcc, v26, v3
	v_addc_co_u32_e32 v38, vcc, v27, v4, vcc
	v_add_co_u32_e32 v3, vcc, v28, v3
	v_addc_co_u32_e32 v4, vcc, v29, v4, vcc
	global_load_dword v5, v[37:38], off
	v_lshl_add_u32 v37, v2, 2, v10
	global_load_dword v3, v[3:4], off
	s_mov_b32 s40, s38
	s_waitcnt vmcnt(1)
	v_min_i32_e32 v38, v7, v5
	v_max_i32_e32 v39, v7, v5
	s_waitcnt vmcnt(0)
	v_min_i32_e32 v40, v34, v3
	v_max_i32_e32 v41, v34, v3
	s_branch .LBB2_56
.LBB2_55:                               ;   in Loop: Header=BB2_56 Depth=5
	s_or_b64 exec, exec, s[28:29]
	s_add_i32 s40, s40, 1
	s_sext_i32_i8 s28, s40
	v_cmp_ge_i32_e32 vcc, s28, v6
	s_or_b64 s[26:27], vcc, s[26:27]
	s_andn2_b64 exec, exec, s[26:27]
	s_cbranch_execz .LBB2_50
.LBB2_56:                               ;   Parent Loop BB2_3 Depth=1
                                        ;     Parent Loop BB2_10 Depth=2
                                        ;       Parent Loop BB2_48 Depth=3
                                        ;         Parent Loop BB2_51 Depth=4
                                        ; =>        This Inner Loop Header: Depth=5
	s_sext_i32_i8 s28, s40
	v_lshl_add_u32 v3, s28, 1, v35
	ds_read_u16 v3, v3
	s_waitcnt lgkmcnt(0)
	v_bfe_i32 v3, v3, 0, 16
	v_ashrrev_i32_e32 v4, 31, v3
	v_lshlrev_b64 v[4:5], 2, v[3:4]
	v_add_co_u32_e32 v4, vcc, v30, v4
	v_addc_co_u32_e32 v5, vcc, v32, v5, vcc
	global_load_ushort v42, v[4:5], off
	s_waitcnt vmcnt(0)
	v_cmp_eq_u16_e32 vcc, v1, v42
	s_and_saveexec_b64 s[28:29], vcc
	s_cbranch_execz .LBB2_58
; %bb.57:                               ;   in Loop: Header=BB2_56 Depth=5
	global_load_ushort v42, v[4:5], off offset:2
.LBB2_58:                               ;   in Loop: Header=BB2_56 Depth=5
	s_or_b64 exec, exec, s[28:29]
	s_waitcnt vmcnt(0)
	v_bfe_i32 v4, v42, 0, 16
	v_ashrrev_i32_e32 v5, 31, v4
	v_lshlrev_b64 v[4:5], 2, v[4:5]
	v_add_co_u32_e32 v42, vcc, v26, v4
	v_addc_co_u32_e32 v43, vcc, v27, v5, vcc
	v_add_co_u32_e32 v4, vcc, v28, v4
	v_addc_co_u32_e32 v5, vcc, v29, v5, vcc
	global_load_dword v42, v[42:43], off
	s_nop 0
	global_load_dword v4, v[4:5], off
	s_waitcnt vmcnt(1)
	v_min_i32_e32 v5, v39, v42
	v_max_i32_e32 v5, v38, v5
	s_waitcnt vmcnt(0)
	v_min_i32_e32 v4, v41, v4
	v_max_i32_e32 v4, v40, v4
	v_sub_u32_e32 v5, v5, v7
	v_sub_u32_e32 v4, v4, v34
	;; [unrolled: 1-line block ×4, first 2 shown]
	v_max_i32_e32 v5, v5, v42
	v_max_i32_e32 v4, v4, v43
	v_add_u32_e32 v4, v4, v5
	v_cmp_ne_u32_e32 vcc, 0, v4
	s_and_saveexec_b64 s[28:29], vcc
	s_cbranch_execz .LBB2_55
; %bb.59:                               ;   in Loop: Header=BB2_56 Depth=5
	v_lshlrev_b32_e32 v4, 9, v4
	v_lshl_add_u32 v5, v3, 2, v10
	v_add_u32_e32 v3, v4, v3
	v_add_u32_e32 v4, v4, v2
	ds_max_i32 v37, v3
	ds_max_i32 v5, v4
	s_branch .LBB2_55
.LBB2_60:                               ;   in Loop: Header=BB2_10 Depth=2
	s_or_b64 exec, exec, s[2:3]
	v_add_u32_e32 v4, -2, v33
	s_mov_b64 s[2:3], 0
	s_waitcnt vmcnt(0)
	v_mov_b32_e32 v5, v31
	v_mov_b32_e32 v1, v8
                                        ; implicit-def: $vgpr2
                                        ; implicit-def: $vgpr3
	s_branch .LBB2_63
.LBB2_61:                               ;   in Loop: Header=BB2_63 Depth=3
	s_or_b64 exec, exec, s[20:21]
	s_bcnt1_i32_b64 s2, vcc
	v_add_u16_e32 v5, s2, v31
	v_add_u16_e32 v1, 64, v1
	s_mov_b64 s[2:3], 0
.LBB2_62:                               ;   in Loop: Header=BB2_63 Depth=3
	s_and_b64 vcc, exec, s[2:3]
	s_andn2_b64 s[2:3], s[4:5], exec
	s_and_b64 s[20:21], s[22:23], exec
	s_or_b64 s[2:3], s[2:3], s[20:21]
	s_cbranch_vccnz .LBB2_9
.LBB2_63:                               ;   Parent Loop BB2_3 Depth=1
                                        ;     Parent Loop BB2_10 Depth=2
                                        ; =>    This Inner Loop Header: Depth=3
	v_bfe_i32 v1, v1, 0, 16
	v_mov_b32_e32 v31, v5
	s_mov_b64 s[4:5], s[2:3]
	v_cmp_gt_i32_e32 vcc, v4, v1
	s_cbranch_vccz .LBB2_76
; %bb.64:                               ;   in Loop: Header=BB2_63 Depth=3
	s_mov_b64 s[2:3], 0
	s_mov_b64 s[22:23], s[4:5]
	s_and_saveexec_b64 s[20:21], vcc
	s_cbranch_execz .LBB2_74
; %bb.65:                               ;   in Loop: Header=BB2_63 Depth=3
	v_lshl_add_u32 v5, v1, 2, v10
	ds_read_b32 v5, v5
	s_mov_b64 s[24:25], 0
	s_mov_b64 s[26:27], s[4:5]
	s_waitcnt lgkmcnt(0)
	v_cmp_lt_i32_e32 vcc, 0, v5
	v_and_b32_e32 v5, 0x1ff, v5
	v_cmp_gt_i32_e64 s[2:3], v5, v1
	s_and_b64 s[2:3], vcc, s[2:3]
	s_and_saveexec_b64 s[22:23], s[2:3]
	s_cbranch_execz .LBB2_73
; %bb.66:                               ;   in Loop: Header=BB2_63 Depth=3
	v_lshl_add_u32 v6, v5, 2, v10
	ds_read_b32 v6, v6
	s_mov_b64 s[2:3], 0
	s_mov_b64 s[26:27], s[4:5]
	s_waitcnt lgkmcnt(0)
	v_ashrrev_i32_e32 v7, 31, v6
	v_lshrrev_b32_e32 v7, 23, v7
	v_add_u32_e32 v7, v6, v7
	v_and_b32_e32 v7, 0xfffffe00, v7
	v_sub_u32_e32 v6, v6, v7
	v_cmp_eq_u32_e32 vcc, v6, v1
	s_and_saveexec_b64 s[24:25], vcc
	s_cbranch_execz .LBB2_72
; %bb.67:                               ;   in Loop: Header=BB2_63 Depth=3
	v_ashrrev_i32_e32 v2, 31, v1
	v_lshlrev_b64 v[2:3], 2, v[1:2]
	v_add_co_u32_e32 v2, vcc, v30, v2
	v_addc_co_u32_e32 v3, vcc, v32, v3, vcc
	global_load_dword v6, v[2:3], off
	v_lshlrev_b32_e32 v2, 2, v5
	v_add_co_u32_e32 v2, vcc, v30, v2
	v_addc_co_u32_e32 v3, vcc, 0, v32, vcc
	global_load_ushort v7, v[2:3], off
	s_waitcnt vmcnt(1)
	v_bfe_i32 v5, v6, 0, 16
	v_lshrrev_b32_e32 v34, 16, v6
	v_ashrrev_i32_e32 v6, 31, v5
	v_lshlrev_b64 v[5:6], 2, v[5:6]
	v_bfe_i32 v35, v34, 0, 16
	v_add_co_u32_e32 v38, vcc, v26, v5
	s_waitcnt vmcnt(0)
	v_bfe_i32 v33, v7, 0, 16
	v_ashrrev_i32_e32 v34, 31, v33
	v_addc_co_u32_e32 v39, vcc, v27, v6, vcc
	v_lshlrev_b64 v[33:34], 2, v[33:34]
	v_add_co_u32_e32 v40, vcc, v28, v5
	v_addc_co_u32_e32 v41, vcc, v29, v6, vcc
	v_add_co_u32_e32 v42, vcc, v26, v33
	v_ashrrev_i32_e32 v36, 31, v35
	v_addc_co_u32_e32 v43, vcc, v27, v34, vcc
	v_lshlrev_b64 v[36:37], 2, v[35:36]
	v_add_co_u32_e32 v44, vcc, v28, v33
	v_addc_co_u32_e32 v45, vcc, v29, v34, vcc
	global_load_dword v5, v[38:39], off
	global_load_dword v6, v[40:41], off
	v_add_co_u32_e32 v38, vcc, v26, v36
	global_load_dword v34, v[42:43], off
	global_load_dword v35, v[44:45], off
	v_addc_co_u32_e32 v39, vcc, v27, v37, vcc
	v_add_co_u32_e32 v36, vcc, v28, v36
	v_addc_co_u32_e32 v37, vcc, v29, v37, vcc
	global_load_dword v7, v[38:39], off
	global_load_dword v33, v[36:37], off
	s_waitcnt vmcnt(3)
	v_cmp_eq_u32_e32 vcc, v34, v5
	s_waitcnt vmcnt(2)
	v_cmp_eq_u32_e64 s[2:3], v35, v6
	s_and_b64 s[26:27], vcc, s[2:3]
	s_xor_b64 s[2:3], s[26:27], -1
	s_and_saveexec_b64 s[28:29], s[2:3]
	s_cbranch_execz .LBB2_69
; %bb.68:                               ;   in Loop: Header=BB2_63 Depth=3
	s_waitcnt vmcnt(1)
	v_cmp_eq_u32_e32 vcc, v34, v7
	s_waitcnt vmcnt(0)
	v_cmp_eq_u32_e64 s[2:3], v35, v33
	s_and_b64 s[2:3], vcc, s[2:3]
	s_andn2_b64 s[26:27], s[26:27], exec
	s_and_b64 s[2:3], s[2:3], exec
	s_or_b64 s[26:27], s[26:27], s[2:3]
.LBB2_69:                               ;   in Loop: Header=BB2_63 Depth=3
	s_or_b64 exec, exec, s[28:29]
	s_and_saveexec_b64 s[2:3], s[26:27]
	s_cbranch_execz .LBB2_71
; %bb.70:                               ;   in Loop: Header=BB2_63 Depth=3
	global_load_ushort v2, v[2:3], off offset:2
	s_waitcnt vmcnt(0)
	v_bfe_i32 v2, v2, 0, 16
	v_ashrrev_i32_e32 v3, 31, v2
	v_lshlrev_b64 v[2:3], 2, v[2:3]
	v_add_co_u32_e32 v36, vcc, v26, v2
	v_addc_co_u32_e32 v37, vcc, v27, v3, vcc
	v_add_co_u32_e32 v2, vcc, v28, v2
	v_addc_co_u32_e32 v3, vcc, v29, v3, vcc
	global_load_dword v34, v[36:37], off
	global_load_dword v35, v[2:3], off
.LBB2_71:                               ;   in Loop: Header=BB2_63 Depth=3
	s_or_b64 exec, exec, s[2:3]
	s_mov_b64 s[2:3], exec
	s_waitcnt vmcnt(1)
	v_med3_i32 v2, v5, v7, v34
	s_waitcnt vmcnt(0)
	v_med3_i32 v3, v6, v33, v35
	s_or_b64 s[26:27], s[4:5], exec
.LBB2_72:                               ;   in Loop: Header=BB2_63 Depth=3
	s_or_b64 exec, exec, s[24:25]
	s_andn2_b64 s[24:25], s[4:5], exec
	s_and_b64 s[26:27], s[26:27], exec
	s_or_b64 s[26:27], s[24:25], s[26:27]
	s_and_b64 s[24:25], s[2:3], exec
.LBB2_73:                               ;   in Loop: Header=BB2_63 Depth=3
	s_or_b64 exec, exec, s[22:23]
	s_and_b64 s[2:3], s[24:25], exec
	s_andn2_b64 s[22:23], s[4:5], exec
	s_and_b64 s[24:25], s[26:27], exec
	s_or_b64 s[22:23], s[22:23], s[24:25]
.LBB2_74:                               ;   in Loop: Header=BB2_63 Depth=3
	s_or_b64 exec, exec, s[20:21]
	v_cndmask_b32_e64 v5, 0, 1, s[2:3]
	v_cmp_ne_u32_e32 vcc, 0, v5
	s_and_saveexec_b64 s[20:21], s[2:3]
	s_cbranch_execz .LBB2_61
; %bb.75:                               ;   in Loop: Header=BB2_63 Depth=3
	v_and_b32_e32 v6, vcc_lo, v12
	v_and_b32_e32 v5, vcc_hi, v11
	v_bcnt_u32_b32 v6, v6, 0
	v_bcnt_u32_b32 v5, v5, v6
	v_bfe_i32 v6, v31, 0, 16
	v_ashrrev_i32_e32 v7, 31, v6
	v_add_co_u32_e64 v5, s[2:3], v5, v6
	v_addc_co_u32_e64 v6, s[2:3], 0, v7, s[2:3]
	v_lshlrev_b64 v[5:6], 2, v[5:6]
	v_add_co_u32_e64 v33, s[2:3], v26, v5
	v_addc_co_u32_e64 v34, s[2:3], v27, v6, s[2:3]
	v_add_co_u32_e64 v5, s[2:3], v28, v5
	v_addc_co_u32_e64 v6, s[2:3], v29, v6, s[2:3]
	s_waitcnt lgkmcnt(0)
	global_store_dword v[33:34], v2, off
	global_store_dword v[5:6], v3, off
	s_branch .LBB2_61
.LBB2_76:                               ;   in Loop: Header=BB2_63 Depth=3
	s_mov_b64 s[2:3], -1
                                        ; implicit-def: $sgpr22_sgpr23
                                        ; implicit-def: $vgpr1
                                        ; implicit-def: $vgpr3
                                        ; implicit-def: $vgpr2
                                        ; implicit-def: $vgpr5
	s_branch .LBB2_62
.LBB2_77:
	s_endpgm
	.section	.rodata,"a",@progbits
	.p2align	6, 0x0
	.amdhsa_kernel _ZL14smallNetKernelILi3ELi512EEvPKiPiS2_P4edgeS2_
		.amdhsa_group_segment_fixed_size 43020
		.amdhsa_private_segment_fixed_size 0
		.amdhsa_kernarg_size 40
		.amdhsa_user_sgpr_count 6
		.amdhsa_user_sgpr_private_segment_buffer 1
		.amdhsa_user_sgpr_dispatch_ptr 0
		.amdhsa_user_sgpr_queue_ptr 0
		.amdhsa_user_sgpr_kernarg_segment_ptr 1
		.amdhsa_user_sgpr_dispatch_id 0
		.amdhsa_user_sgpr_flat_scratch_init 0
		.amdhsa_user_sgpr_private_segment_size 0
		.amdhsa_uses_dynamic_stack 0
		.amdhsa_system_sgpr_private_segment_wavefront_offset 0
		.amdhsa_system_sgpr_workgroup_id_x 1
		.amdhsa_system_sgpr_workgroup_id_y 0
		.amdhsa_system_sgpr_workgroup_id_z 0
		.amdhsa_system_sgpr_workgroup_info 0
		.amdhsa_system_vgpr_workitem_id 0
		.amdhsa_next_free_vgpr 129
		.amdhsa_next_free_sgpr 98
		.amdhsa_reserve_vcc 1
		.amdhsa_reserve_flat_scratch 0
		.amdhsa_float_round_mode_32 0
		.amdhsa_float_round_mode_16_64 0
		.amdhsa_float_denorm_mode_32 3
		.amdhsa_float_denorm_mode_16_64 3
		.amdhsa_dx10_clamp 1
		.amdhsa_ieee_mode 1
		.amdhsa_fp16_overflow 0
		.amdhsa_exception_fp_ieee_invalid_op 0
		.amdhsa_exception_fp_denorm_src 0
		.amdhsa_exception_fp_ieee_div_zero 0
		.amdhsa_exception_fp_ieee_overflow 0
		.amdhsa_exception_fp_ieee_underflow 0
		.amdhsa_exception_fp_ieee_inexact 0
		.amdhsa_exception_int_div_zero 0
	.end_amdhsa_kernel
	.section	.text._ZL14smallNetKernelILi3ELi512EEvPKiPiS2_P4edgeS2_,"axG",@progbits,_ZL14smallNetKernelILi3ELi512EEvPKiPiS2_P4edgeS2_,comdat
.Lfunc_end2:
	.size	_ZL14smallNetKernelILi3ELi512EEvPKiPiS2_P4edgeS2_, .Lfunc_end2-_ZL14smallNetKernelILi3ELi512EEvPKiPiS2_P4edgeS2_
                                        ; -- End function
	.set _ZL14smallNetKernelILi3ELi512EEvPKiPiS2_P4edgeS2_.num_vgpr, 46
	.set _ZL14smallNetKernelILi3ELi512EEvPKiPiS2_P4edgeS2_.num_agpr, 0
	.set _ZL14smallNetKernelILi3ELi512EEvPKiPiS2_P4edgeS2_.numbered_sgpr, 41
	.set _ZL14smallNetKernelILi3ELi512EEvPKiPiS2_P4edgeS2_.num_named_barrier, 0
	.set _ZL14smallNetKernelILi3ELi512EEvPKiPiS2_P4edgeS2_.private_seg_size, 0
	.set _ZL14smallNetKernelILi3ELi512EEvPKiPiS2_P4edgeS2_.uses_vcc, 1
	.set _ZL14smallNetKernelILi3ELi512EEvPKiPiS2_P4edgeS2_.uses_flat_scratch, 0
	.set _ZL14smallNetKernelILi3ELi512EEvPKiPiS2_P4edgeS2_.has_dyn_sized_stack, 0
	.set _ZL14smallNetKernelILi3ELi512EEvPKiPiS2_P4edgeS2_.has_recursion, 0
	.set _ZL14smallNetKernelILi3ELi512EEvPKiPiS2_P4edgeS2_.has_indirect_call, 0
	.section	.AMDGPU.csdata,"",@progbits
; Kernel info:
; codeLenInByte = 3592
; TotalNumSgprs: 45
; NumVgprs: 46
; ScratchSize: 0
; MemoryBound: 0
; FloatMode: 240
; IeeeMode: 1
; LDSByteSize: 43020 bytes/workgroup (compile time only)
; SGPRBlocks: 12
; VGPRBlocks: 32
; NumSGPRsForWavesPerEU: 102
; NumVGPRsForWavesPerEU: 129
; Occupancy: 1
; WaveLimiterHint : 1
; COMPUTE_PGM_RSRC2:SCRATCH_EN: 0
; COMPUTE_PGM_RSRC2:USER_SGPR: 6
; COMPUTE_PGM_RSRC2:TRAP_HANDLER: 0
; COMPUTE_PGM_RSRC2:TGID_X_EN: 1
; COMPUTE_PGM_RSRC2:TGID_Y_EN: 0
; COMPUTE_PGM_RSRC2:TGID_Z_EN: 0
; COMPUTE_PGM_RSRC2:TIDIG_COMP_CNT: 0
	.section	.AMDGPU.gpr_maximums,"",@progbits
	.set amdgpu.max_num_vgpr, 0
	.set amdgpu.max_num_agpr, 0
	.set amdgpu.max_num_sgpr, 0
	.section	.AMDGPU.csdata,"",@progbits
	.type	_ZL8currpos1,@object            ; @_ZL8currpos1
	.local	_ZL8currpos1
	.comm	_ZL8currpos1,4,2
	.type	_ZL6wlsize,@object              ; @_ZL6wlsize
	.local	_ZL6wlsize
	.comm	_ZL6wlsize,4,2
	.type	_ZL8currpos2,@object            ; @_ZL8currpos2
	.local	_ZL8currpos2
	.comm	_ZL8currpos2,4,2
	.type	__hip_cuid_fe0cca09e85bd62b,@object ; @__hip_cuid_fe0cca09e85bd62b
	.section	.bss,"aw",@nobits
	.globl	__hip_cuid_fe0cca09e85bd62b
__hip_cuid_fe0cca09e85bd62b:
	.byte	0                               ; 0x0
	.size	__hip_cuid_fe0cca09e85bd62b, 1

	.ident	"AMD clang version 22.0.0git (https://github.com/RadeonOpenCompute/llvm-project roc-7.2.4 26084 f58b06dce1f9c15707c5f808fd002e18c2accf7e)"
	.section	".note.GNU-stack","",@progbits
	.addrsig
	.addrsig_sym _ZL8currpos1
	.addrsig_sym _ZL6wlsize
	.addrsig_sym _ZL8currpos2
	.addrsig_sym __hip_cuid_fe0cca09e85bd62b
	.amdgpu_metadata
---
amdhsa.kernels:
  - .args:
      - .actual_access:  read_only
        .address_space:  global
        .offset:         0
        .size:           8
        .value_kind:     global_buffer
      - .actual_access:  read_only
        .address_space:  global
        .offset:         8
        .size:           8
        .value_kind:     global_buffer
      - .actual_access:  read_only
        .address_space:  global
        .offset:         16
        .size:           8
        .value_kind:     global_buffer
      - .actual_access:  write_only
        .address_space:  global
        .offset:         24
        .size:           8
        .value_kind:     global_buffer
      - .address_space:  global
        .offset:         32
        .size:           8
        .value_kind:     global_buffer
      - .address_space:  global
        .offset:         40
        .size:           8
        .value_kind:     global_buffer
      - .address_space:  global
        .offset:         48
        .size:           8
        .value_kind:     global_buffer
      - .offset:         56
        .size:           4
        .value_kind:     by_value
      - .actual_access:  write_only
        .address_space:  global
        .offset:         64
        .size:           8
        .value_kind:     global_buffer
    .group_segment_fixed_size: 21552
    .kernarg_segment_align: 8
    .kernarg_segment_size: 72
    .language:       OpenCL C
    .language_version:
      - 2
      - 0
    .max_flat_workgroup_size: 768
    .name:           _ZL14largeNetKernelILi12ELi64EEvPKiS1_S1_PiS2_S2_P4edgeiS2_
    .private_segment_fixed_size: 0
    .sgpr_count:     63
    .sgpr_spill_count: 0
    .symbol:         _ZL14largeNetKernelILi12ELi64EEvPKiS1_S1_PiS2_S2_P4edgeiS2_.kd
    .uniform_work_group_size: 1
    .uses_dynamic_stack: false
    .vgpr_count:     50
    .vgpr_spill_count: 0
    .wavefront_size: 64
  - .args:
      - .actual_access:  read_only
        .address_space:  global
        .offset:         0
        .size:           8
        .value_kind:     global_buffer
      - .actual_access:  read_only
        .address_space:  global
        .offset:         8
        .size:           8
        .value_kind:     global_buffer
      - .actual_access:  read_only
        .address_space:  global
        .offset:         16
        .size:           8
        .value_kind:     global_buffer
      - .actual_access:  write_only
        .address_space:  global
        .offset:         24
        .size:           8
        .value_kind:     global_buffer
      - .address_space:  global
        .offset:         32
        .size:           8
        .value_kind:     global_buffer
      - .address_space:  global
        .offset:         40
        .size:           8
        .value_kind:     global_buffer
      - .address_space:  global
        .offset:         48
        .size:           8
        .value_kind:     global_buffer
      - .offset:         56
        .size:           4
        .value_kind:     by_value
      - .actual_access:  write_only
        .address_space:  global
        .offset:         64
        .size:           8
        .value_kind:     global_buffer
    .group_segment_fixed_size: 43104
    .kernarg_segment_align: 8
    .kernarg_segment_size: 72
    .language:       OpenCL C
    .language_version:
      - 2
      - 0
    .max_flat_workgroup_size: 1024
    .name:           _ZL14largeNetKernelILi24ELi64EEvPKiS1_S1_PiS2_S2_P4edgeiS2_
    .private_segment_fixed_size: 0
    .sgpr_count:     63
    .sgpr_spill_count: 0
    .symbol:         _ZL14largeNetKernelILi24ELi64EEvPKiS1_S1_PiS2_S2_P4edgeiS2_.kd
    .uniform_work_group_size: 1
    .uses_dynamic_stack: false
    .vgpr_count:     54
    .vgpr_spill_count: 0
    .wavefront_size: 64
  - .args:
      - .actual_access:  read_only
        .address_space:  global
        .offset:         0
        .size:           8
        .value_kind:     global_buffer
      - .address_space:  global
        .offset:         8
        .size:           8
        .value_kind:     global_buffer
      - .address_space:  global
        .offset:         16
        .size:           8
        .value_kind:     global_buffer
      - .address_space:  global
        .offset:         24
        .size:           8
        .value_kind:     global_buffer
      - .actual_access:  read_only
        .address_space:  global
        .offset:         32
        .size:           8
        .value_kind:     global_buffer
    .group_segment_fixed_size: 43020
    .kernarg_segment_align: 8
    .kernarg_segment_size: 40
    .language:       OpenCL C
    .language_version:
      - 2
      - 0
    .max_flat_workgroup_size: 192
    .name:           _ZL14smallNetKernelILi3ELi512EEvPKiPiS2_P4edgeS2_
    .private_segment_fixed_size: 0
    .sgpr_count:     45
    .sgpr_spill_count: 0
    .symbol:         _ZL14smallNetKernelILi3ELi512EEvPKiPiS2_P4edgeS2_.kd
    .uniform_work_group_size: 1
    .uses_dynamic_stack: false
    .vgpr_count:     46
    .vgpr_spill_count: 0
    .wavefront_size: 64
amdhsa.target:   amdgcn-amd-amdhsa--gfx906
amdhsa.version:
  - 1
  - 2
...

	.end_amdgpu_metadata
